;; amdgpu-corpus repo=ROCm/rccl kind=compiled arch=gfx1100 opt=O3
	.text
	.amdgcn_target "amdgcn-amd-amdhsa--gfx1100"
	.amdhsa_code_object_version 6
	.p2align	2                               ; -- Begin function _ZN12_GLOBAL__N_17runRingI11rccl_float87FuncSumIS1_E7ProtoLLLi0ELi1ELi0EEEviiP15ncclDevWorkColl
	.type	_ZN12_GLOBAL__N_17runRingI11rccl_float87FuncSumIS1_E7ProtoLLLi0ELi1ELi0EEEviiP15ncclDevWorkColl,@function
_ZN12_GLOBAL__N_17runRingI11rccl_float87FuncSumIS1_E7ProtoLLLi0ELi1ELi0EEEviiP15ncclDevWorkColl: ; @_ZN12_GLOBAL__N_17runRingI11rccl_float87FuncSumIS1_E7ProtoLLLi0ELi1ELi0EEEviiP15ncclDevWorkColl
; %bb.0:
	s_waitcnt vmcnt(0) expcnt(0) lgkmcnt(0)
	s_cbranch_execnz .LBB0_15
; %bb.1:
	v_mov_b32_e32 v4, v0
	s_clause 0x2
	flat_load_b32 v0, v[2:3]
	flat_load_b128 v[6:9], v[2:3] offset:72
	flat_load_b64 v[18:19], v[2:3] offset:88
	s_mov_b32 s0, exec_lo
                                        ; implicit-def: $vgpr26_vgpr27
	s_waitcnt vmcnt(2) lgkmcnt(2)
	v_and_b32_e32 v11, 0xff, v0
	v_bfe_u32 v10, v0, 8, 8
	s_delay_alu instid0(VALU_DEP_2) | instskip(SKIP_3) | instid1(VALU_DEP_1)
	v_not_b32_e32 v0, v11
	ds_load_b32 v5, v0
	ds_load_b64 v[24:25], v0
	v_add_nc_u32_e32 v12, v10, v0
	v_ashrrev_i32_e32 v13, 31, v12
	s_waitcnt vmcnt(1) lgkmcnt(3)
	v_mul_lo_u32 v14, v9, v12
	v_mad_u64_u32 v[20:21], null, v8, v12, 0
	s_delay_alu instid0(VALU_DEP_3) | instskip(NEXT) | instid1(VALU_DEP_1)
	v_mul_lo_u32 v12, v8, v13
	v_add3_u32 v64, v21, v12, v14
	s_waitcnt lgkmcnt(1)
	v_readfirstlane_b32 s10, v5
                                        ; implicit-def: $vgpr21_vgpr22
	v_cmpx_ne_u32_e64 v11, v5
	s_xor_b32 s0, exec_lo, s0
	s_cbranch_execz .LBB0_7
; %bb.2:
	s_mov_b32 s1, exec_lo
                                        ; implicit-def: $vgpr21_vgpr22
                                        ; implicit-def: $vgpr26_vgpr27
	v_cmpx_ne_u32_e64 v10, v5
	s_xor_b32 s1, exec_lo, s1
	s_cbranch_execz .LBB0_4
; %bb.3:
	flat_load_b64 v[10:11], v[2:3] offset:96
	v_add_nc_u32_e32 v0, v5, v0
	s_delay_alu instid0(VALU_DEP_1) | instskip(SKIP_2) | instid1(VALU_DEP_3)
	v_ashrrev_i32_e32 v5, 31, v0
	v_mul_lo_u32 v12, v9, v0
	v_mad_u64_u32 v[26:27], null, v8, v0, v[6:7]
	v_mul_lo_u32 v5, v8, v5
	s_delay_alu instid0(VALU_DEP_1)
	v_add3_u32 v27, v12, v27, v5
	s_waitcnt vmcnt(0) lgkmcnt(0)
	v_lshrrev_b64 v[21:22], 17, v[10:11]
.LBB0_4:
	s_and_not1_saveexec_b32 s1, s1
	s_cbranch_execz .LBB0_6
; %bb.5:
	flat_load_b32 v0, v[2:3] offset:100
	v_add_co_u32 v26, vcc_lo, v20, v6
	v_add_co_ci_u32_e32 v27, vcc_lo, v64, v7, vcc_lo
	s_waitcnt vmcnt(1)
	v_dual_mov_b32 v8, v18 :: v_dual_mov_b32 v9, v19
	s_waitcnt vmcnt(0) lgkmcnt(0)
	v_lshrrev_b32_e32 v21, 6, v0
.LBB0_6:
	s_or_b32 exec_lo, exec_lo, s1
.LBB0_7:
	s_and_not1_saveexec_b32 s0, s0
	s_cbranch_execz .LBB0_9
; %bb.8:
	flat_load_b64 v[8:9], v[2:3] offset:96
	v_mov_b32_e32 v26, 0
	v_mov_b32_e32 v27, 0
	s_waitcnt vmcnt(0) lgkmcnt(0)
	v_lshlrev_b64 v[21:22], 4, v[8:9]
	v_dual_mov_b32 v9, v7 :: v_dual_mov_b32 v8, v6
.LBB0_9:
	s_or_b32 exec_lo, exec_lo, s0
	s_load_b32 s0, s[8:9], 0x0
	v_mov_b32_e32 v0, 0
	s_mov_b32 s2, 0
	s_waitcnt lgkmcnt(0)
	s_cmp_lt_u32 s12, s0
	s_cselect_b32 s0, 12, 18
	s_delay_alu instid0(SALU_CYCLE_1)
	s_add_u32 s0, s8, s0
	s_addc_u32 s1, s9, 0
	s_clause 0x2
	flat_load_b128 v[10:13], v[2:3] offset:16
	flat_load_u16 v15, v[2:3] offset:8
	flat_load_b32 v14, v[2:3] offset:4
	global_load_u16 v0, v0, s[0:1]
	s_cbranch_execnz .LBB0_17
; %bb.10:
	s_waitcnt vmcnt(0)
	ds_load_b32 v2, v0
	v_ashrrev_i32_e32 v5, 31, v4
	s_waitcnt lgkmcnt(1)
	v_lshrrev_b64 v[14:15], 31, v[14:15]
	s_delay_alu instid0(VALU_DEP_2) | instskip(NEXT) | instid1(VALU_DEP_2)
	v_lshrrev_b32_e32 v3, 27, v5
	v_and_b32_e32 v15, 3, v14
	s_delay_alu instid0(VALU_DEP_2) | instskip(NEXT) | instid1(VALU_DEP_1)
	v_add_nc_u32_e32 v3, v4, v3
	v_and_b32_e32 v3, 0xffffffe0, v3
	s_waitcnt lgkmcnt(0)
	v_cmp_gt_i32_e32 vcc_lo, 0, v2
	s_delay_alu instid0(VALU_DEP_2)
	v_sub_nc_u32_e32 v14, v4, v3
	v_readfirstlane_b32 s1, v2
	s_cbranch_vccnz .LBB0_19
; %bb.11:
	s_delay_alu instid0(VALU_DEP_2)
	v_cmp_eq_u32_e32 vcc_lo, 0, v14
	s_cbranch_execnz .LBB0_23
; %bb.12:
	ds_load_b64 v[16:17], v0
	v_dual_mov_b32 v3, 0 :: v_dual_and_b32 v22, 0xffff, v15
	s_mov_b32 s2, 1
	s_delay_alu instid0(VALU_DEP_1) | instskip(SKIP_1) | instid1(VALU_DEP_1)
	v_lshlrev_b64 v[2:3], 3, v[2:3]
	s_waitcnt lgkmcnt(0)
	v_add_co_u32 v2, s0, v16, v2
	s_delay_alu instid0(VALU_DEP_1)
	v_add_co_ci_u32_e64 v3, s0, v17, v3, s0
	flat_load_b64 v[2:3], v[2:3]
	s_waitcnt vmcnt(0) lgkmcnt(0)
	v_mad_u64_u32 v[16:17], null, 0xa8, v22, v[2:3]
	s_clause 0x1
	flat_load_b64 v[32:33], v[16:17] offset:504
	flat_load_b64 v[34:35], v[16:17] offset:608
	v_add_co_u32 v2, s0, 0x1f8, v16
	s_delay_alu instid0(VALU_DEP_1) | instskip(NEXT) | instid1(VALU_DEP_1)
	v_add_co_ci_u32_e64 v3, s0, 0, v17, s0
	v_dual_cndmask_b32 v28, 0, v2 :: v_dual_cndmask_b32 v29, 0, v3
	s_cbranch_execz .LBB0_20
.LBB0_13:
	s_trap 2
	s_sendmsg_rtn_b32 s0, sendmsg(MSG_RTN_GET_DOORBELL)
	s_mov_b32 ttmp2, m0
	s_waitcnt lgkmcnt(0)
	s_and_b32 s0, s0, 0x3ff
	s_delay_alu instid0(SALU_CYCLE_1) | instskip(NEXT) | instid1(SALU_CYCLE_1)
	s_bitset1_b32 s0, 10
	s_mov_b32 m0, s0
	s_sendmsg sendmsg(MSG_INTERRUPT)
	s_mov_b32 m0, ttmp2
.LBB0_14:                               ; =>This Inner Loop Header: Depth=1
	s_sethalt 5
	s_branch .LBB0_14
.LBB0_15:
	s_trap 2
	s_sendmsg_rtn_b32 s0, sendmsg(MSG_RTN_GET_DOORBELL)
	s_mov_b32 ttmp2, m0
	s_waitcnt lgkmcnt(0)
	s_and_b32 s0, s0, 0x3ff
	s_delay_alu instid0(SALU_CYCLE_1) | instskip(NEXT) | instid1(SALU_CYCLE_1)
	s_bitset1_b32 s0, 10
	s_mov_b32 m0, s0
	s_sendmsg sendmsg(MSG_INTERRUPT)
	s_mov_b32 m0, ttmp2
.LBB0_16:                               ; =>This Inner Loop Header: Depth=1
	s_sethalt 5
	s_branch .LBB0_16
.LBB0_17:
	s_trap 2
	s_sendmsg_rtn_b32 s0, sendmsg(MSG_RTN_GET_DOORBELL)
	s_mov_b32 ttmp2, m0
	s_waitcnt lgkmcnt(0)
	s_and_b32 s0, s0, 0x3ff
	s_delay_alu instid0(SALU_CYCLE_1) | instskip(NEXT) | instid1(SALU_CYCLE_1)
	s_bitset1_b32 s0, 10
	s_mov_b32 m0, s0
	s_sendmsg sendmsg(MSG_INTERRUPT)
	s_mov_b32 m0, ttmp2
.LBB0_18:                               ; =>This Inner Loop Header: Depth=1
	s_sethalt 5
	s_branch .LBB0_18
.LBB0_19:
	v_mov_b32_e32 v28, 0
	v_mov_b32_e32 v29, 0
                                        ; implicit-def: $vgpr34_vgpr35
                                        ; implicit-def: $vgpr32_vgpr33
	s_cbranch_execnz .LBB0_13
.LBB0_20:
	ds_load_b32 v2, v0
	v_mov_b32_e32 v38, 0
	v_mov_b32_e32 v39, 0
	s_waitcnt lgkmcnt(0)
	v_cmp_gt_i32_e32 vcc_lo, 0, v2
	s_cbranch_vccnz .LBB0_25
; %bb.21:
	s_cbranch_execnz .LBB0_637
; %bb.22:
	ds_load_b64 v[16:17], v0
	v_mov_b32_e32 v3, 0
	s_delay_alu instid0(VALU_DEP_1) | instskip(SKIP_1) | instid1(VALU_DEP_1)
	v_lshlrev_b64 v[2:3], 3, v[2:3]
	s_waitcnt lgkmcnt(0)
	v_add_co_u32 v2, vcc_lo, v16, v2
	s_delay_alu instid0(VALU_DEP_2)
	v_add_co_ci_u32_e32 v3, vcc_lo, v17, v3, vcc_lo
	v_and_b32_e32 v17, 0xffff, v15
	v_cmp_eq_u32_e32 vcc_lo, 0, v14
	flat_load_b64 v[2:3], v[2:3]
	s_waitcnt vmcnt(0) lgkmcnt(0)
	v_mad_u64_u32 v[15:16], null, 0xa8, v17, v[2:3]
	s_clause 0x1
	flat_load_b64 v[48:49], v[15:16]
	flat_load_b64 v[22:23], v[15:16] offset:104
	v_dual_cndmask_b32 v36, 0, v15 :: v_dual_cndmask_b32 v37, 0, v16
	s_branch .LBB0_26
.LBB0_23:
	s_trap 2
	s_sendmsg_rtn_b32 s0, sendmsg(MSG_RTN_GET_DOORBELL)
	s_mov_b32 ttmp2, m0
	s_waitcnt lgkmcnt(0)
	s_and_b32 s0, s0, 0x3ff
	s_delay_alu instid0(SALU_CYCLE_1) | instskip(NEXT) | instid1(SALU_CYCLE_1)
	s_bitset1_b32 s0, 10
	s_mov_b32 m0, s0
	s_sendmsg sendmsg(MSG_INTERRUPT)
	s_mov_b32 m0, ttmp2
.LBB0_24:                               ; =>This Inner Loop Header: Depth=1
	s_sethalt 5
	s_branch .LBB0_24
.LBB0_25:
	s_delay_alu instid0(VALU_DEP_2)
	v_dual_mov_b32 v36, v38 :: v_dual_mov_b32 v37, v39
                                        ; implicit-def: $vgpr22_vgpr23
                                        ; implicit-def: $vgpr48_vgpr49
.LBB0_26:
	v_subrev_nc_u32_e32 v2, 32, v1
	v_cmp_gt_i32_e64 s0, s2, v14
                                        ; implicit-def: $vgpr50_vgpr51
	s_delay_alu instid0(VALU_DEP_2) | instskip(NEXT) | instid1(VALU_DEP_2)
	v_cmp_le_i32_e32 vcc_lo, v2, v4
	s_and_b32 s12, vcc_lo, s0
	s_delay_alu instid0(SALU_CYCLE_1)
	s_and_saveexec_b32 s0, s12
; %bb.27:
	s_clause 0x1
	flat_load_b64 v[38:39], v[28:29] offset:56
	flat_load_b64 v[50:51], v[28:29] offset:104
; %bb.28:
	s_or_b32 exec_lo, exec_lo, s0
	v_mov_b32_e32 v2, 0
	v_mov_b32_e32 v3, 0
	v_cmp_gt_i32_e64 s0, s2, v4
                                        ; implicit-def: $vgpr54_vgpr55
	s_delay_alu instid0(VALU_DEP_2) | instskip(SKIP_1) | instid1(VALU_DEP_3)
	v_dual_mov_b32 v15, v3 :: v_dual_mov_b32 v14, v2
	v_dual_mov_b32 v53, v3 :: v_dual_mov_b32 v52, v2
	s_and_saveexec_b32 s2, s0
	s_cbranch_execz .LBB0_30
; %bb.29:
	flat_load_b64 v[52:53], v[36:37] offset:56
	s_waitcnt vmcnt(0) lgkmcnt(0)
	flat_load_b64 v[54:55], v[52:53] glc dlc
	s_waitcnt vmcnt(0)
	flat_load_b128 v[14:17], v[36:37] offset:96
.LBB0_30:
	s_or_b32 exec_lo, exec_lo, s2
	v_and_b32_e32 v0, 0xffff, v0
	s_mov_b32 s13, exec_lo
	v_cmpx_ne_u64_e32 0, v[8:9]
	s_cbranch_execz .LBB0_625
; %bb.31:
	v_add_co_u32 v2, vcc_lo, v18, v6
	s_ashr_i32 s2, s1, 31
	v_add_co_ci_u32_e32 v3, vcc_lo, v19, v7, vcc_lo
	s_delay_alu instid0(VALU_DEP_2)
	v_add_co_u32 v30, vcc_lo, v2, v20
	v_ashrrev_i32_e32 v2, 31, v1
	s_lshr_b32 s2, s2, 29
	s_ashr_i32 s11, s10, 31
	s_add_i32 s1, s1, s2
	s_lshl_b64 s[2:3], s[10:11], 2
	v_add_co_ci_u32_e32 v100, vcc_lo, v3, v64, vcc_lo
	v_add_co_u32 v3, vcc_lo, v24, s2
	v_lshrrev_b32_e32 v18, 27, v2
	v_dual_mov_b32 v65, 0 :: v_dual_lshlrev_b32 v102, 3, v4
	v_and_b32_e32 v66, 0x1fffff0, v21
	v_add_co_ci_u32_e32 v7, vcc_lo, s3, v25, vcc_lo
	v_add_co_u32 v6, vcc_lo, v3, -4
	v_dual_mov_b32 v68, 0 :: v_dual_add_nc_u32 v3, v1, v18
	v_mov_b32_e32 v69, 0
	v_ashrrev_i32_e32 v113, 31, v102
	v_dual_mov_b32 v67, v65 :: v_dual_and_b32 v18, 31, v31
	v_add_co_ci_u32_e32 v7, vcc_lo, -1, v7, vcc_lo
	v_add_co_u32 v115, vcc_lo, v12, v102
	s_delay_alu instid0(VALU_DEP_4) | instskip(NEXT) | instid1(VALU_DEP_4)
	v_add_co_ci_u32_e32 v116, vcc_lo, v13, v113, vcc_lo
	v_cmp_eq_u32_e64 s5, 0, v18
	v_add_co_u32 v117, vcc_lo, v10, v102
	v_lshlrev_b64 v[18:19], 4, v[4:5]
	v_add_co_ci_u32_e32 v118, vcc_lo, v11, v113, vcc_lo
	v_ashrrev_i32_e32 v101, 5, v3
	v_dual_mov_b32 v130, 0 :: v_dual_lshlrev_b32 v103, 3, v1
	v_add_co_u32 v10, vcc_lo, v115, v26
	v_add_co_ci_u32_e32 v11, vcc_lo, v116, v27, vcc_lo
	s_ashr_i32 s4, s1, 3
	s_waitcnt vmcnt(1) lgkmcnt(1)
	v_add_co_u32 v119, vcc_lo, v48, v18
	s_ashr_i32 s14, s1, 7
	v_cmp_ne_u64_e64 s1, 0, v[52:53]
	s_waitcnt vmcnt(0) lgkmcnt(0)
	v_cmp_ne_u64_e64 s2, 0, v[14:15]
	v_cmp_ne_u64_e64 s6, 0, v[38:39]
	v_lshlrev_b32_e32 v5, 6, v1
	v_lshlrev_b64 v[70:71], 4, v[1:2]
	v_mov_b32_e32 v2, v68
	s_and_b32 s11, s4, -16
	v_cmp_ne_u32_e64 s3, 32, v1
	v_cmp_ne_u32_e64 s4, v0, v1
	v_ashrrev_i32_e32 v112, 31, v101
	v_ashrrev_i32_e32 v114, 31, v103
	v_add_co_ci_u32_e32 v128, vcc_lo, v49, v19, vcc_lo
	v_mov_b32_e32 v129, 1
	v_mov_b32_e32 v3, v69
	s_cmp_gt_i32 s10, 2
	s_mov_b32 s15, 0
	s_cselect_b32 s16, -1, 0
.LBB0_32:                               ; =>This Loop Header: Depth=1
                                        ;     Child Loop BB0_39 Depth 2
                                        ;     Child Loop BB0_59 Depth 2
                                        ;     Child Loop BB0_75 Depth 2
                                        ;     Child Loop BB0_82 Depth 2
                                        ;     Child Loop BB0_85 Depth 2
                                        ;       Child Loop BB0_92 Depth 3
                                        ;       Child Loop BB0_112 Depth 3
	;; [unrolled: 1-line block ×3, first 2 shown]
                                        ;         Child Loop BB0_138 Depth 4
                                        ;       Child Loop BB0_348 Depth 3
                                        ;       Child Loop BB0_365 Depth 3
                                        ;     Child Loop BB0_370 Depth 2
                                        ;       Child Loop BB0_378 Depth 3
                                        ;     Child Loop BB0_608 Depth 2
	s_waitcnt vmcnt(0) lgkmcnt(0)
	flat_load_b32 v20, v[6:7]
	v_sub_co_u32 v18, vcc_lo, v8, v68
	v_sub_co_ci_u32_e32 v19, vcc_lo, v9, v69, vcc_lo
	s_delay_alu instid0(VALU_DEP_1) | instskip(SKIP_1) | instid1(VALU_DEP_1)
	v_cmp_lt_u64_e32 vcc_lo, v[66:67], v[18:19]
	v_cndmask_b32_e32 v21, v18, v66, vcc_lo
	v_lshl_add_u32 v18, v21, 1, 14
	s_delay_alu instid0(VALU_DEP_1)
	v_and_b32_e32 v132, 0x7fffff0, v18
	s_and_saveexec_b32 s7, s1
	s_cbranch_execz .LBB0_50
; %bb.33:                               ;   in Loop: Header=BB0_32 Depth=1
	v_add_co_u32 v18, vcc_lo, v16, 1
	v_add_co_ci_u32_e32 v19, vcc_lo, 0, v17, vcc_lo
	v_add_co_u32 v80, vcc_lo, v54, 8
	v_add_co_ci_u32_e32 v81, vcc_lo, 0, v55, vcc_lo
	s_mov_b32 s8, exec_lo
	s_delay_alu instid0(VALU_DEP_1)
	v_cmpx_lt_u64_e64 v[80:81], v[18:19]
	s_cbranch_execz .LBB0_47
; %bb.34:                               ;   in Loop: Header=BB0_32 Depth=1
	s_sleep 1
	flat_load_b64 v[54:55], v[52:53] glc
	v_cmp_eq_u32_e32 vcc_lo, 0, v130
	s_and_saveexec_b32 s9, vcc_lo
	s_cbranch_execz .LBB0_46
; %bb.35:                               ;   in Loop: Header=BB0_32 Depth=1
	v_cndmask_b32_e64 v17, 0, 1, vcc_lo
	s_mov_b32 s17, 0
                                        ; implicit-def: $sgpr18
	s_branch .LBB0_39
.LBB0_36:                               ;   in Loop: Header=BB0_39 Depth=2
	s_or_b32 exec_lo, exec_lo, s21
	s_delay_alu instid0(SALU_CYCLE_1)
	s_or_not1_b32 s21, s22, exec_lo
.LBB0_37:                               ;   in Loop: Header=BB0_39 Depth=2
	s_or_b32 exec_lo, exec_lo, s20
	s_xor_b32 s20, s21, -1
	s_and_not1_b32 s18, s18, exec_lo
	s_and_b32 s20, s20, exec_lo
	s_delay_alu instid0(SALU_CYCLE_1)
	s_or_b32 s18, s18, s20
.LBB0_38:                               ;   in Loop: Header=BB0_39 Depth=2
	s_or_b32 exec_lo, exec_lo, s19
	s_delay_alu instid0(SALU_CYCLE_1) | instskip(NEXT) | instid1(SALU_CYCLE_1)
	s_and_b32 s19, exec_lo, s18
	s_or_b32 s17, s19, s17
	s_delay_alu instid0(SALU_CYCLE_1)
	s_and_not1_b32 exec_lo, exec_lo, s17
	s_cbranch_execz .LBB0_45
.LBB0_39:                               ;   Parent Loop BB0_32 Depth=1
                                        ; =>  This Inner Loop Header: Depth=2
	s_waitcnt vmcnt(0) lgkmcnt(0)
	v_add_co_u32 v80, vcc_lo, v54, 8
	v_add_co_ci_u32_e32 v81, vcc_lo, 0, v55, vcc_lo
	v_mov_b32_e32 v130, 0
	s_or_b32 s18, s18, exec_lo
	s_mov_b32 s19, exec_lo
	s_delay_alu instid0(VALU_DEP_2)
	v_cmpx_lt_u64_e64 v[80:81], v[18:19]
	s_cbranch_execz .LBB0_38
; %bb.40:                               ;   in Loop: Header=BB0_39 Depth=2
	s_sleep 1
	flat_load_b64 v[54:55], v[52:53] glc
	v_dual_mov_b32 v130, 0 :: v_dual_add_nc_u32 v17, 1, v17
	s_mov_b32 s21, -1
	s_mov_b32 s20, exec_lo
	s_delay_alu instid0(VALU_DEP_1)
	v_cmpx_eq_u32_e32 0x2710, v17
	s_cbranch_execz .LBB0_37
; %bb.41:                               ;   in Loop: Header=BB0_39 Depth=2
	s_cbranch_execnz .LBB0_643
; %bb.42:                               ;   in Loop: Header=BB0_39 Depth=2
	ds_load_b64 v[80:81], v0
	v_dual_mov_b32 v17, 0 :: v_dual_mov_b32 v130, 0
	s_mov_b32 s22, -1
	s_mov_b32 s21, exec_lo
	s_waitcnt vmcnt(0) lgkmcnt(0)
	s_waitcnt_vscnt null, 0x0
	flat_load_b32 v64, v[80:81] glc
	s_waitcnt vmcnt(0) lgkmcnt(0)
	buffer_gl1_inv
	buffer_gl0_inv
	v_cmpx_ne_u32_e32 0, v64
	s_cbranch_execz .LBB0_36
; %bb.43:                               ;   in Loop: Header=BB0_39 Depth=2
	ds_store_b32 v0, v64
	s_cbranch_execnz .LBB0_668
; %bb.44:                               ;   in Loop: Header=BB0_39 Depth=2
	v_mov_b32_e32 v130, 1
	s_xor_b32 s22, exec_lo, -1
	s_branch .LBB0_36
.LBB0_45:                               ;   in Loop: Header=BB0_32 Depth=1
	s_or_b32 exec_lo, exec_lo, s17
.LBB0_46:                               ;   in Loop: Header=BB0_32 Depth=1
	s_delay_alu instid0(SALU_CYCLE_1)
	s_or_b32 exec_lo, exec_lo, s9
.LBB0_47:                               ;   in Loop: Header=BB0_32 Depth=1
	s_delay_alu instid0(SALU_CYCLE_1)
	s_or_b32 exec_lo, exec_lo, s8
	s_and_saveexec_b32 s8, s2
	s_cbranch_execz .LBB0_49
; %bb.48:                               ;   in Loop: Header=BB0_32 Depth=1
	v_and_b32_e32 v64, 0x7ffffff8, v16
	v_and_b32_e32 v17, 7, v16
	s_delay_alu instid0(VALU_DEP_2) | instskip(NEXT) | instid1(VALU_DEP_2)
	v_cmp_eq_u64_e32 vcc_lo, 0x7ffffff8, v[64:65]
	v_mad_u64_u32 v[80:81], null, v17, 24, v[14:15]
	v_cndmask_b32_e64 v16, v132, s11, vcc_lo
	s_delay_alu instid0(VALU_DEP_1)
	v_ashrrev_i32_e32 v17, 31, v16
	flat_store_b64 v[80:81], v[16:17] offset:8 dlc
	s_waitcnt_vscnt null, 0x0
.LBB0_49:                               ;   in Loop: Header=BB0_32 Depth=1
	s_or_b32 exec_lo, exec_lo, s8
	v_dual_mov_b32 v16, v18 :: v_dual_mov_b32 v17, v19
.LBB0_50:                               ;   in Loop: Header=BB0_32 Depth=1
	s_or_b32 exec_lo, exec_lo, s7
	s_and_saveexec_b32 s7, s3
	s_cbranch_execz .LBB0_72
; %bb.51:                               ;   in Loop: Header=BB0_32 Depth=1
	s_and_saveexec_b32 s8, s4
	s_delay_alu instid0(SALU_CYCLE_1)
	s_xor_b32 s8, exec_lo, s8
	s_cbranch_execz .LBB0_69
; %bb.52:                               ;   in Loop: Header=BB0_32 Depth=1
	s_and_saveexec_b32 s9, s5
	s_cbranch_execz .LBB0_68
; %bb.53:                               ;   in Loop: Header=BB0_32 Depth=1
	s_mov_b32 s18, exec_lo
	s_mov_b32 s17, exec_lo
	v_mbcnt_lo_u32_b32 v18, s18, 0
	s_waitcnt vmcnt(0) lgkmcnt(0)
	s_waitcnt_vscnt null, 0x0
	buffer_gl1_inv
	buffer_gl0_inv
	v_cmpx_eq_u32_e32 0, v18
	s_cbranch_execz .LBB0_55
; %bb.54:                               ;   in Loop: Header=BB0_32 Depth=1
	s_bcnt1_i32_b32 s18, s18
	s_delay_alu instid0(SALU_CYCLE_1)
	v_mov_b32_e32 v64, s18
	ds_add_u64 v0, v[64:65]
	s_cbranch_execnz .LBB0_662
.LBB0_55:                               ;   in Loop: Header=BB0_32 Depth=1
	s_or_b32 exec_lo, exec_lo, s17
	s_cbranch_execnz .LBB0_649
; %bb.56:                               ;   in Loop: Header=BB0_32 Depth=1
	ds_load_b64 v[18:19], v0
	v_add_co_u32 v2, vcc_lo, v2, v101
	v_add_co_ci_u32_e32 v3, vcc_lo, v3, v112, vcc_lo
	s_mov_b32 s17, exec_lo
	s_waitcnt lgkmcnt(0)
	s_delay_alu instid0(VALU_DEP_1)
	v_cmpx_lt_u64_e64 v[18:19], v[2:3]
	s_cbranch_execz .LBB0_67
; %bb.57:                               ;   in Loop: Header=BB0_32 Depth=1
	s_mov_b32 s18, 0
	s_mov_b32 s21, 0
                                        ; implicit-def: $sgpr19
                                        ; implicit-def: $sgpr20
	s_branch .LBB0_59
.LBB0_58:                               ;   in Loop: Header=BB0_59 Depth=2
	s_or_b32 exec_lo, exec_lo, s24
	s_delay_alu instid0(SALU_CYCLE_1) | instskip(NEXT) | instid1(SALU_CYCLE_1)
	s_and_b32 s22, exec_lo, s23
	s_or_b32 s18, s22, s18
	s_and_not1_b32 s19, s19, exec_lo
	s_and_b32 s22, s20, exec_lo
	s_delay_alu instid0(SALU_CYCLE_1)
	s_or_b32 s19, s19, s22
	s_and_not1_b32 exec_lo, exec_lo, s18
	s_cbranch_execz .LBB0_65
.LBB0_59:                               ;   Parent Loop BB0_32 Depth=1
                                        ; =>  This Inner Loop Header: Depth=2
	s_add_i32 s21, s21, 1
                                        ; implicit-def: $sgpr23
	s_delay_alu instid0(SALU_CYCLE_1) | instskip(SKIP_1) | instid1(SALU_CYCLE_1)
	s_cmpk_lg_i32 s21, 0x2710
	s_cselect_b32 s22, -1, 0
	s_and_b32 vcc_lo, exec_lo, s22
	s_cbranch_vccz .LBB0_63
.LBB0_60:                               ;   in Loop: Header=BB0_59 Depth=2
	s_and_not1_b32 s20, s20, exec_lo
	s_and_b32 s24, s23, exec_lo
	s_mov_b32 s23, -1
	s_or_b32 s20, s20, s24
	s_and_saveexec_b32 s24, s22
	s_cbranch_execz .LBB0_58
; %bb.61:                               ;   in Loop: Header=BB0_59 Depth=2
	s_sleep 1
	s_cbranch_execnz .LBB0_676
; %bb.62:                               ;   in Loop: Header=BB0_59 Depth=2
	ds_load_b64 v[18:19], v0
	s_and_not1_b32 s20, s20, exec_lo
	s_waitcnt lgkmcnt(0)
	v_cmp_ge_u64_e32 vcc_lo, v[18:19], v[2:3]
	s_or_not1_b32 s23, vcc_lo, exec_lo
	s_branch .LBB0_58
.LBB0_63:                               ;   in Loop: Header=BB0_59 Depth=2
	s_cbranch_execnz .LBB0_684
; %bb.64:                               ;   in Loop: Header=BB0_59 Depth=2
	ds_load_b64 v[18:19], v0
	s_and_not1_b32 s22, s22, exec_lo
	s_mov_b32 s21, 0
	s_mov_b32 s23, -1
	s_waitcnt lgkmcnt(0)
	flat_load_b32 v18, v[18:19] glc
	s_waitcnt vmcnt(0) lgkmcnt(0)
	buffer_gl1_inv
	buffer_gl0_inv
	v_cmp_eq_u32_e32 vcc_lo, 0, v18
	s_and_b32 s24, vcc_lo, exec_lo
	s_delay_alu instid0(SALU_CYCLE_1)
	s_or_b32 s22, s22, s24
	s_branch .LBB0_60
.LBB0_65:                               ;   in Loop: Header=BB0_32 Depth=1
	s_or_b32 exec_lo, exec_lo, s18
	s_and_saveexec_b32 s18, s19
	s_delay_alu instid0(SALU_CYCLE_1)
	s_xor_b32 s18, exec_lo, s18
	s_cbranch_execz .LBB0_67
; %bb.66:                               ;   in Loop: Header=BB0_32 Depth=1
	ds_store_b32 v0, v129
	s_cbranch_execnz .LBB0_709
.LBB0_67:                               ;   in Loop: Header=BB0_32 Depth=1
	s_or_b32 exec_lo, exec_lo, s17
	;;#ASMSTART
	s_wakeup
	;;#ASMEND
.LBB0_68:                               ;   in Loop: Header=BB0_32 Depth=1
	s_or_b32 exec_lo, exec_lo, s9
.LBB0_69:                               ;   in Loop: Header=BB0_32 Depth=1
	s_and_not1_saveexec_b32 s8, s8
	s_cbranch_execz .LBB0_71
; %bb.70:                               ;   in Loop: Header=BB0_32 Depth=1
	s_waitcnt vmcnt(0) lgkmcnt(0)
	s_waitcnt_vscnt null, 0x0
	buffer_gl1_inv
	buffer_gl0_inv
	s_barrier
.LBB0_71:                               ;   in Loop: Header=BB0_32 Depth=1
	s_or_b32 exec_lo, exec_lo, s8
.LBB0_72:                               ;   in Loop: Header=BB0_32 Depth=1
	s_delay_alu instid0(SALU_CYCLE_1) | instskip(SKIP_2) | instid1(VALU_DEP_2)
	s_or_b32 exec_lo, exec_lo, s7
	v_sub_nc_u32_e32 v131, v21, v102
	v_mov_b32_e32 v80, v4
	v_cmp_lt_i32_e64 s7, 0, v131
	s_delay_alu instid0(VALU_DEP_1)
	s_and_saveexec_b32 s9, s7
	s_cbranch_execz .LBB0_80
; %bb.73:                               ;   in Loop: Header=BB0_32 Depth=1
	v_and_b32_e32 v18, 7, v22
	s_waitcnt vmcnt(0) lgkmcnt(0)
	v_ashrrev_i32_e32 v21, 31, v20
	v_mad_u64_u32 v[81:82], null, v30, v20, v[10:11]
	v_mul_lo_u32 v83, v100, v20
	v_mul_lo_u32 v18, v18, s14
	s_delay_alu instid0(VALU_DEP_4)
	v_mul_lo_u32 v85, v30, v21
	v_mov_b32_e32 v80, v22
	v_mul_lo_u32 v84, v30, v20
	v_add_co_u32 v87, vcc_lo, 0, 0
	v_mov_b32_e32 v64, v131
	s_mov_b32 s17, 0
	v_ashrrev_i32_e32 v19, 31, v18
	v_add3_u32 v82, v83, v82, v85
	v_add_lshl_u32 v96, v10, v84, 3
	s_delay_alu instid0(VALU_DEP_3) | instskip(SKIP_2) | instid1(VALU_DEP_3)
	v_lshlrev_b64 v[20:21], 4, v[18:19]
	v_add_co_ci_u32_e32 v19, vcc_lo, 1, v80, vcc_lo
	v_mov_b32_e32 v80, v4
	v_add_co_u32 v83, vcc_lo, v119, v20
	s_delay_alu instid0(VALU_DEP_4)
	v_add_co_ci_u32_e32 v84, vcc_lo, v128, v21, vcc_lo
	s_set_inst_prefetch_distance 0x1
	s_branch .LBB0_75
	.p2align	6
.LBB0_74:                               ;   in Loop: Header=BB0_75 Depth=2
	s_or_b32 exec_lo, exec_lo, s8
	s_waitcnt vmcnt(0) lgkmcnt(0)
	v_alignbit_b32 v18, v98, v18, v96
	v_alignbit_b32 v20, v97, v98, v96
	v_dual_mov_b32 v21, v19 :: v_dual_add_nc_u32 v80, v80, v1
	v_sub_nc_u32_e32 v64, v64, v103
	s_delay_alu instid0(VALU_DEP_4) | instskip(NEXT) | instid1(VALU_DEP_4)
	v_or_b32_e32 v18, v87, v18
	v_or_b32_e32 v20, v87, v20
	v_add_co_u32 v81, vcc_lo, v81, v103
	v_add_co_ci_u32_e32 v82, vcc_lo, v82, v114, vcc_lo
	global_store_b128 v[83:84], v[18:21], off
	v_cmp_gt_i32_e32 vcc_lo, 1, v64
	v_add_co_u32 v83, s8, v83, v70
	v_add_nc_u32_e32 v96, v96, v5
	v_add_co_ci_u32_e64 v84, s8, v84, v71, s8
	s_or_b32 s17, vcc_lo, s17
	s_delay_alu instid0(SALU_CYCLE_1)
	s_and_not1_b32 exec_lo, exec_lo, s17
	s_cbranch_execz .LBB0_79
.LBB0_75:                               ;   Parent Loop BB0_32 Depth=1
                                        ; =>  This Inner Loop Header: Depth=2
	v_dual_mov_b32 v21, v82 :: v_dual_and_b32 v20, -4, v81
	v_min_u32_e32 v85, 8, v64
	v_dual_mov_b32 v97, 0 :: v_dual_and_b32 v86, 3, v81
	v_mov_b32_e32 v98, 0
	flat_load_b32 v18, v[20:21] glc
	v_add_co_u32 v85, s8, v86, v85
	s_delay_alu instid0(VALU_DEP_1) | instskip(SKIP_1) | instid1(VALU_DEP_1)
	v_add_co_ci_u32_e64 v86, null, 0, 0, s8
	s_mov_b32 s8, exec_lo
	v_cmpx_lt_u64_e32 4, v[85:86]
	s_cbranch_execz .LBB0_77
; %bb.76:                               ;   in Loop: Header=BB0_75 Depth=2
	flat_load_b32 v98, v[20:21] offset:4 glc
.LBB0_77:                               ;   in Loop: Header=BB0_75 Depth=2
	s_or_b32 exec_lo, exec_lo, s8
	s_delay_alu instid0(SALU_CYCLE_1)
	s_mov_b32 s8, exec_lo
	v_cmpx_lt_u64_e32 8, v[85:86]
	s_cbranch_execz .LBB0_74
; %bb.78:                               ;   in Loop: Header=BB0_75 Depth=2
	flat_load_b32 v97, v[20:21] offset:8 glc
	s_branch .LBB0_74
.LBB0_79:                               ;   in Loop: Header=BB0_32 Depth=1
	s_set_inst_prefetch_distance 0x2
	s_or_b32 exec_lo, exec_lo, s17
.LBB0_80:                               ;   in Loop: Header=BB0_32 Depth=1
	s_delay_alu instid0(SALU_CYCLE_1) | instskip(SKIP_2) | instid1(VALU_DEP_2)
	s_or_b32 exec_lo, exec_lo, s9
	v_and_b32_e32 v64, 0x7ffffff8, v22
	v_cmp_gt_i32_e64 s8, s14, v80
	v_cmp_eq_u64_e32 vcc_lo, 0x7ffffff8, v[64:65]
	s_delay_alu instid0(VALU_DEP_2) | instskip(NEXT) | instid1(SALU_CYCLE_1)
	s_and_b32 s8, vcc_lo, s8
	s_and_saveexec_b32 s9, s8
	s_cbranch_execz .LBB0_83
; %bb.81:                               ;   in Loop: Header=BB0_32 Depth=1
	v_and_b32_e32 v18, 7, v22
	v_ashrrev_i32_e32 v81, 31, v80
	v_mov_b32_e32 v64, v22
	s_mov_b32 s17, 0
	s_delay_alu instid0(VALU_DEP_3) | instskip(SKIP_2) | instid1(VALU_DEP_2)
	v_mul_lo_u32 v18, v18, s14
	s_waitcnt vmcnt(0) lgkmcnt(0)
	v_lshlrev_b64 v[20:21], 4, v[80:81]
	v_ashrrev_i32_e32 v19, 31, v18
	s_delay_alu instid0(VALU_DEP_1) | instskip(NEXT) | instid1(VALU_DEP_1)
	v_lshlrev_b64 v[18:19], 4, v[18:19]
	v_add_co_u32 v20, vcc_lo, v20, v18
	s_delay_alu instid0(VALU_DEP_2) | instskip(SKIP_2) | instid1(VALU_DEP_4)
	v_add_co_ci_u32_e32 v21, vcc_lo, v21, v19, vcc_lo
	v_add_co_u32 v18, vcc_lo, 0, 0
	v_add_co_ci_u32_e32 v19, vcc_lo, 1, v64, vcc_lo
	v_add_co_u32 v81, vcc_lo, v48, v20
	s_delay_alu instid0(VALU_DEP_4)
	v_add_co_ci_u32_e32 v82, vcc_lo, v49, v21, vcc_lo
.LBB0_82:                               ;   Parent Loop BB0_32 Depth=1
                                        ; =>  This Inner Loop Header: Depth=2
	s_delay_alu instid0(VALU_DEP_3) | instskip(SKIP_4) | instid1(VALU_DEP_1)
	v_dual_mov_b32 v20, v18 :: v_dual_mov_b32 v21, v19
	v_add_nc_u32_e32 v80, v80, v1
	global_store_b128 v[81:82], v[18:21], off
	v_cmp_le_i32_e32 vcc_lo, s14, v80
	v_add_co_u32 v81, s8, v81, v70
	v_add_co_ci_u32_e64 v82, s8, v82, v71, s8
	s_or_b32 s17, vcc_lo, s17
	s_delay_alu instid0(SALU_CYCLE_1)
	s_and_not1_b32 exec_lo, exec_lo, s17
	s_cbranch_execnz .LBB0_82
.LBB0_83:                               ;   in Loop: Header=BB0_32 Depth=1
	s_or_b32 exec_lo, exec_lo, s9
	v_add_co_u32 v133, vcc_lo, v68, v26
	v_add_co_ci_u32_e32 v134, vcc_lo, v69, v27, vcc_lo
	v_add_co_u32 v80, vcc_lo, v22, 1
	v_add_co_ci_u32_e32 v81, vcc_lo, 0, v23, vcc_lo
	s_and_not1_b32 vcc_lo, exec_lo, s16
	s_cbranch_vccnz .LBB0_367
; %bb.84:                               ;   in Loop: Header=BB0_32 Depth=1
	v_add_co_u32 v82, vcc_lo, v115, v133
	v_add_co_ci_u32_e32 v83, vcc_lo, v116, v134, vcc_lo
	v_add_nc_u16 v135, v22, 1
	s_mov_b32 s17, 2
.LBB0_85:                               ;   Parent Loop BB0_32 Depth=1
                                        ; =>  This Loop Header: Depth=2
                                        ;       Child Loop BB0_92 Depth 3
                                        ;       Child Loop BB0_112 Depth 3
	;; [unrolled: 1-line block ×3, first 2 shown]
                                        ;         Child Loop BB0_138 Depth 4
                                        ;       Child Loop BB0_348 Depth 3
                                        ;       Child Loop BB0_365 Depth 3
	s_delay_alu instid0(SALU_CYCLE_1) | instskip(NEXT) | instid1(SALU_CYCLE_1)
	s_sub_i32 s8, s10, s17
	s_ashr_i32 s9, s8, 31
	s_delay_alu instid0(SALU_CYCLE_1) | instskip(NEXT) | instid1(SALU_CYCLE_1)
	s_lshl_b64 s[8:9], s[8:9], 2
	v_add_co_u32 v18, vcc_lo, v24, s8
	v_add_co_ci_u32_e32 v19, vcc_lo, s9, v25, vcc_lo
	s_waitcnt vmcnt(0) lgkmcnt(0)
	flat_load_b32 v20, v[18:19]
	s_and_saveexec_b32 s8, s1
	s_cbranch_execz .LBB0_103
; %bb.86:                               ;   in Loop: Header=BB0_85 Depth=2
	v_add_co_u32 v18, vcc_lo, v16, 1
	v_add_co_ci_u32_e32 v19, vcc_lo, 0, v17, vcc_lo
	v_add_co_u32 v21, vcc_lo, v54, 8
	v_add_co_ci_u32_e32 v22, vcc_lo, 0, v55, vcc_lo
	s_mov_b32 s9, exec_lo
	s_delay_alu instid0(VALU_DEP_1)
	v_cmpx_lt_u64_e64 v[21:22], v[18:19]
	s_cbranch_execz .LBB0_100
; %bb.87:                               ;   in Loop: Header=BB0_85 Depth=2
	s_sleep 1
	flat_load_b64 v[54:55], v[52:53] glc
	v_cmp_eq_u32_e32 vcc_lo, 0, v130
	s_and_saveexec_b32 s18, vcc_lo
	s_cbranch_execz .LBB0_99
; %bb.88:                               ;   in Loop: Header=BB0_85 Depth=2
	v_cndmask_b32_e64 v17, 0, 1, vcc_lo
	s_mov_b32 s19, 0
                                        ; implicit-def: $sgpr20
	s_branch .LBB0_92
.LBB0_89:                               ;   in Loop: Header=BB0_92 Depth=3
	s_or_b32 exec_lo, exec_lo, s23
	s_delay_alu instid0(SALU_CYCLE_1)
	s_or_not1_b32 s23, s24, exec_lo
.LBB0_90:                               ;   in Loop: Header=BB0_92 Depth=3
	s_or_b32 exec_lo, exec_lo, s22
	s_xor_b32 s22, s23, -1
	s_and_not1_b32 s20, s20, exec_lo
	s_and_b32 s22, s22, exec_lo
	s_delay_alu instid0(SALU_CYCLE_1)
	s_or_b32 s20, s20, s22
.LBB0_91:                               ;   in Loop: Header=BB0_92 Depth=3
	s_or_b32 exec_lo, exec_lo, s21
	s_delay_alu instid0(SALU_CYCLE_1) | instskip(NEXT) | instid1(SALU_CYCLE_1)
	s_and_b32 s21, exec_lo, s20
	s_or_b32 s19, s21, s19
	s_delay_alu instid0(SALU_CYCLE_1)
	s_and_not1_b32 exec_lo, exec_lo, s19
	s_cbranch_execz .LBB0_98
.LBB0_92:                               ;   Parent Loop BB0_32 Depth=1
                                        ;     Parent Loop BB0_85 Depth=2
                                        ; =>    This Inner Loop Header: Depth=3
	s_waitcnt vmcnt(0) lgkmcnt(0)
	v_add_co_u32 v21, vcc_lo, v54, 8
	v_add_co_ci_u32_e32 v22, vcc_lo, 0, v55, vcc_lo
	v_mov_b32_e32 v130, 0
	s_or_b32 s20, s20, exec_lo
	s_mov_b32 s21, exec_lo
	s_delay_alu instid0(VALU_DEP_2)
	v_cmpx_lt_u64_e64 v[21:22], v[18:19]
	s_cbranch_execz .LBB0_91
; %bb.93:                               ;   in Loop: Header=BB0_92 Depth=3
	s_sleep 1
	flat_load_b64 v[54:55], v[52:53] glc
	v_dual_mov_b32 v130, 0 :: v_dual_add_nc_u32 v17, 1, v17
	s_mov_b32 s23, -1
	s_mov_b32 s22, exec_lo
	s_delay_alu instid0(VALU_DEP_1)
	v_cmpx_eq_u32_e32 0x2710, v17
	s_cbranch_execz .LBB0_90
; %bb.94:                               ;   in Loop: Header=BB0_92 Depth=3
	s_cbranch_execnz .LBB0_645
; %bb.95:                               ;   in Loop: Header=BB0_92 Depth=3
	ds_load_b64 v[21:22], v0
	v_dual_mov_b32 v17, 0 :: v_dual_mov_b32 v130, 0
	s_mov_b32 s24, -1
	s_mov_b32 s23, exec_lo
	s_waitcnt vmcnt(0) lgkmcnt(0)
	s_waitcnt_vscnt null, 0x0
	flat_load_b32 v21, v[21:22] glc
	s_waitcnt vmcnt(0) lgkmcnt(0)
	buffer_gl1_inv
	buffer_gl0_inv
	v_cmpx_ne_u32_e32 0, v21
	s_cbranch_execz .LBB0_89
; %bb.96:                               ;   in Loop: Header=BB0_92 Depth=3
	ds_store_b32 v0, v21
	s_cbranch_execnz .LBB0_672
; %bb.97:                               ;   in Loop: Header=BB0_92 Depth=3
	v_mov_b32_e32 v130, 1
	s_xor_b32 s24, exec_lo, -1
	s_branch .LBB0_89
.LBB0_98:                               ;   in Loop: Header=BB0_85 Depth=2
	s_or_b32 exec_lo, exec_lo, s19
.LBB0_99:                               ;   in Loop: Header=BB0_85 Depth=2
	s_delay_alu instid0(SALU_CYCLE_1)
	s_or_b32 exec_lo, exec_lo, s18
.LBB0_100:                              ;   in Loop: Header=BB0_85 Depth=2
	s_delay_alu instid0(SALU_CYCLE_1)
	s_or_b32 exec_lo, exec_lo, s9
	s_and_saveexec_b32 s9, s2
	s_cbranch_execz .LBB0_102
; %bb.101:                              ;   in Loop: Header=BB0_85 Depth=2
	v_and_b32_e32 v64, 0x7ffffff8, v16
	v_and_b32_e32 v17, 7, v16
	s_delay_alu instid0(VALU_DEP_2) | instskip(NEXT) | instid1(VALU_DEP_2)
	v_cmp_eq_u64_e32 vcc_lo, 0x7ffffff8, v[64:65]
	v_mad_u64_u32 v[21:22], null, v17, 24, v[14:15]
	v_cndmask_b32_e64 v16, v132, s11, vcc_lo
	s_delay_alu instid0(VALU_DEP_1)
	v_ashrrev_i32_e32 v17, 31, v16
	flat_store_b64 v[21:22], v[16:17] offset:8 dlc
	s_waitcnt_vscnt null, 0x0
.LBB0_102:                              ;   in Loop: Header=BB0_85 Depth=2
	s_or_b32 exec_lo, exec_lo, s9
	v_dual_mov_b32 v16, v18 :: v_dual_mov_b32 v17, v19
.LBB0_103:                              ;   in Loop: Header=BB0_85 Depth=2
	s_or_b32 exec_lo, exec_lo, s8
	s_and_saveexec_b32 s8, s3
	s_cbranch_execz .LBB0_125
; %bb.104:                              ;   in Loop: Header=BB0_85 Depth=2
	s_and_saveexec_b32 s9, s4
	s_delay_alu instid0(SALU_CYCLE_1)
	s_xor_b32 s9, exec_lo, s9
	s_cbranch_execz .LBB0_122
; %bb.105:                              ;   in Loop: Header=BB0_85 Depth=2
	s_and_saveexec_b32 s18, s5
	s_cbranch_execz .LBB0_121
; %bb.106:                              ;   in Loop: Header=BB0_85 Depth=2
	s_mov_b32 s20, exec_lo
	s_mov_b32 s19, exec_lo
	v_mbcnt_lo_u32_b32 v18, s20, 0
	s_waitcnt vmcnt(0) lgkmcnt(0)
	s_waitcnt_vscnt null, 0x0
	buffer_gl1_inv
	buffer_gl0_inv
	v_cmpx_eq_u32_e32 0, v18
	s_cbranch_execz .LBB0_108
; %bb.107:                              ;   in Loop: Header=BB0_85 Depth=2
	s_bcnt1_i32_b32 s20, s20
	s_delay_alu instid0(SALU_CYCLE_1)
	v_mov_b32_e32 v64, s20
	ds_add_u64 v0, v[64:65]
	s_cbranch_execnz .LBB0_670
.LBB0_108:                              ;   in Loop: Header=BB0_85 Depth=2
	s_or_b32 exec_lo, exec_lo, s19
	s_cbranch_execnz .LBB0_664
; %bb.109:                              ;   in Loop: Header=BB0_85 Depth=2
	ds_load_b64 v[18:19], v0
	v_add_co_u32 v2, vcc_lo, v2, v101
	v_add_co_ci_u32_e32 v3, vcc_lo, v3, v112, vcc_lo
	s_mov_b32 s19, exec_lo
	s_waitcnt lgkmcnt(0)
	s_delay_alu instid0(VALU_DEP_1)
	v_cmpx_lt_u64_e64 v[18:19], v[2:3]
	s_cbranch_execz .LBB0_120
; %bb.110:                              ;   in Loop: Header=BB0_85 Depth=2
	s_mov_b32 s20, 0
	s_mov_b32 s23, 0
                                        ; implicit-def: $sgpr21
                                        ; implicit-def: $sgpr22
	s_branch .LBB0_112
.LBB0_111:                              ;   in Loop: Header=BB0_112 Depth=3
	s_or_b32 exec_lo, exec_lo, s26
	s_delay_alu instid0(SALU_CYCLE_1) | instskip(NEXT) | instid1(SALU_CYCLE_1)
	s_and_b32 s24, exec_lo, s25
	s_or_b32 s20, s24, s20
	s_and_not1_b32 s21, s21, exec_lo
	s_and_b32 s24, s22, exec_lo
	s_delay_alu instid0(SALU_CYCLE_1)
	s_or_b32 s21, s21, s24
	s_and_not1_b32 exec_lo, exec_lo, s20
	s_cbranch_execz .LBB0_118
.LBB0_112:                              ;   Parent Loop BB0_32 Depth=1
                                        ;     Parent Loop BB0_85 Depth=2
                                        ; =>    This Inner Loop Header: Depth=3
	s_add_i32 s23, s23, 1
                                        ; implicit-def: $sgpr25
	s_delay_alu instid0(SALU_CYCLE_1) | instskip(SKIP_1) | instid1(SALU_CYCLE_1)
	s_cmpk_lg_i32 s23, 0x2710
	s_cselect_b32 s24, -1, 0
	s_and_b32 vcc_lo, exec_lo, s24
	s_cbranch_vccz .LBB0_116
.LBB0_113:                              ;   in Loop: Header=BB0_112 Depth=3
	s_and_not1_b32 s22, s22, exec_lo
	s_and_b32 s26, s25, exec_lo
	s_mov_b32 s25, -1
	s_or_b32 s22, s22, s26
	s_and_saveexec_b32 s26, s24
	s_cbranch_execz .LBB0_111
; %bb.114:                              ;   in Loop: Header=BB0_112 Depth=3
	s_sleep 1
	s_cbranch_execnz .LBB0_688
; %bb.115:                              ;   in Loop: Header=BB0_112 Depth=3
	ds_load_b64 v[18:19], v0
	s_and_not1_b32 s22, s22, exec_lo
	s_waitcnt lgkmcnt(0)
	v_cmp_ge_u64_e32 vcc_lo, v[18:19], v[2:3]
	s_or_not1_b32 s25, vcc_lo, exec_lo
	s_branch .LBB0_111
.LBB0_116:                              ;   in Loop: Header=BB0_112 Depth=3
	s_cbranch_execnz .LBB0_692
; %bb.117:                              ;   in Loop: Header=BB0_112 Depth=3
	ds_load_b64 v[18:19], v0
	s_and_not1_b32 s24, s24, exec_lo
	s_mov_b32 s23, 0
	s_mov_b32 s25, -1
	s_waitcnt lgkmcnt(0)
	flat_load_b32 v18, v[18:19] glc
	s_waitcnt vmcnt(0) lgkmcnt(0)
	buffer_gl1_inv
	buffer_gl0_inv
	v_cmp_eq_u32_e32 vcc_lo, 0, v18
	s_and_b32 s26, vcc_lo, exec_lo
	s_delay_alu instid0(SALU_CYCLE_1)
	s_or_b32 s24, s24, s26
	s_branch .LBB0_113
.LBB0_118:                              ;   in Loop: Header=BB0_85 Depth=2
	s_or_b32 exec_lo, exec_lo, s20
	s_and_saveexec_b32 s20, s21
	s_delay_alu instid0(SALU_CYCLE_1)
	s_xor_b32 s20, exec_lo, s20
	s_cbranch_execz .LBB0_120
; %bb.119:                              ;   in Loop: Header=BB0_85 Depth=2
	ds_store_b32 v0, v129
	s_cbranch_execnz .LBB0_713
.LBB0_120:                              ;   in Loop: Header=BB0_85 Depth=2
	s_or_b32 exec_lo, exec_lo, s19
	;;#ASMSTART
	s_wakeup
	;;#ASMEND
.LBB0_121:                              ;   in Loop: Header=BB0_85 Depth=2
	s_or_b32 exec_lo, exec_lo, s18
.LBB0_122:                              ;   in Loop: Header=BB0_85 Depth=2
	s_and_not1_saveexec_b32 s9, s9
	s_cbranch_execz .LBB0_124
; %bb.123:                              ;   in Loop: Header=BB0_85 Depth=2
	s_waitcnt vmcnt(0) lgkmcnt(0)
	s_waitcnt_vscnt null, 0x0
	buffer_gl1_inv
	buffer_gl0_inv
	s_barrier
.LBB0_124:                              ;   in Loop: Header=BB0_85 Depth=2
	s_or_b32 exec_lo, exec_lo, s9
.LBB0_125:                              ;   in Loop: Header=BB0_85 Depth=2
	s_delay_alu instid0(SALU_CYCLE_1)
	s_or_b32 exec_lo, exec_lo, s8
	v_mov_b32_e32 v84, v4
	s_and_saveexec_b32 s18, s7
	s_cbranch_execz .LBB0_339
; %bb.126:                              ;   in Loop: Header=BB0_85 Depth=2
	v_dual_mov_b32 v149, v131 :: v_dual_and_b32 v18, 7, v34
	v_dual_mov_b32 v84, v80 :: v_dual_and_b32 v19, 7, v80
	s_waitcnt vmcnt(0) lgkmcnt(0)
	v_ashrrev_i32_e32 v22, 31, v20
	s_delay_alu instid0(VALU_DEP_3)
	v_mul_lo_u32 v18, v18, s14
	v_mad_u64_u32 v[86:87], null, v30, v20, v[82:83]
	v_mul_lo_u32 v21, v19, s14
	v_mul_lo_u32 v20, v100, v20
	;; [unrolled: 1-line block ×3, first 2 shown]
	v_add_nc_u32_e32 v64, 1, v34
	s_mov_b32 s19, 0
	v_ashrrev_i32_e32 v19, 31, v18
	v_ashrrev_i32_e32 v22, 31, v21
	s_delay_alu instid0(VALU_DEP_4) | instskip(NEXT) | instid1(VALU_DEP_3)
	v_add3_u32 v87, v20, v87, v23
	v_lshlrev_b64 v[18:19], 4, v[18:19]
	s_delay_alu instid0(VALU_DEP_3) | instskip(NEXT) | instid1(VALU_DEP_2)
	v_lshlrev_b64 v[20:21], 4, v[21:22]
	v_add_co_u32 v144, vcc_lo, v32, v18
	s_delay_alu instid0(VALU_DEP_3) | instskip(NEXT) | instid1(VALU_DEP_3)
	v_add_co_ci_u32_e32 v145, vcc_lo, v33, v19, vcc_lo
	v_add_co_u32 v146, vcc_lo, v48, v20
	s_delay_alu instid0(VALU_DEP_4)
	v_add_co_ci_u32_e32 v147, vcc_lo, v49, v21, vcc_lo
	v_add_co_u32 v148, vcc_lo, 0, 0
	v_add_co_ci_u32_e32 v19, vcc_lo, 1, v84, vcc_lo
	v_mov_b32_e32 v84, v4
	s_branch .LBB0_130
.LBB0_127:                              ;   in Loop: Header=BB0_130 Depth=3
	s_or_b32 exec_lo, exec_lo, s8
	s_delay_alu instid0(VALU_DEP_1) | instskip(NEXT) | instid1(VALU_DEP_2)
	v_lshrrev_b32_e32 v151, 20, v151
	v_cmp_gt_i32_e32 vcc_lo, 16, v85
	v_min_i32_e32 v160, 15, v85
	v_lshrrev_b32_e32 v22, 24, v22
	s_delay_alu instid0(VALU_DEP_2) | instskip(NEXT) | instid1(VALU_DEP_2)
	v_dual_cndmask_b32 v151, 7, v151 :: v_dual_lshlrev_b32 v160, 3, v160
	v_and_b32_e32 v22, 0x80, v22
	s_delay_alu instid0(VALU_DEP_2) | instskip(SKIP_1) | instid1(VALU_DEP_2)
	v_or_b32_e32 v85, v85, v151
	v_and_b32_e32 v161, 7, v151
	v_cmp_ne_u32_e32 vcc_lo, 0, v85
	v_and_b32_e32 v160, 0xf8, v160
	s_delay_alu instid0(VALU_DEP_1) | instskip(NEXT) | instid1(VALU_DEP_1)
	v_or3_b32 v22, v22, v160, v161
	v_lshlrev_b32_e32 v22, 8, v22
	s_delay_alu instid0(VALU_DEP_1)
	v_cndmask_b32_e32 v85, 0, v22, vcc_lo
.LBB0_128:                              ;   in Loop: Header=BB0_130 Depth=3
	s_or_b32 exec_lo, exec_lo, s20
.LBB0_129:                              ;   in Loop: Header=BB0_130 Depth=3
	s_delay_alu instid0(SALU_CYCLE_1) | instskip(SKIP_4) | instid1(VALU_DEP_4)
	s_or_b32 exec_lo, exec_lo, s9
	v_and_b32_e32 v22, 0xff, v23
	v_lshlrev_b32_e32 v21, 8, v21
	v_or_b32_e32 v23, v85, v150
	v_add_co_u32 v86, vcc_lo, v86, v103
	v_lshlrev_b32_e32 v22, 16, v22
	v_sub_nc_u32_e32 v149, v149, v103
	v_add_co_ci_u32_e32 v87, vcc_lo, v87, v114, vcc_lo
	v_and_or_b32 v85, 0xff, v98, v99
	v_perm_b32 v18, v21, v18, 0xc0c0500
	v_lshl_or_b32 v20, v20, 24, v22
	v_lshlrev_b32_e32 v21, 16, v23
	v_add_co_u32 v22, vcc_lo, v146, v96
	v_add_co_ci_u32_e32 v23, vcc_lo, v147, v97, vcc_lo
	v_cmp_gt_i32_e32 vcc_lo, 1, v149
	v_or3_b32 v18, v20, v18, v148
	v_or3_b32 v20, v85, v21, v148
	v_dual_mov_b32 v21, v19 :: v_dual_add_nc_u32 v84, v84, v1
	s_or_b32 s19, vcc_lo, s19
	global_store_b128 v[22:23], v[18:21], off
	s_and_not1_b32 exec_lo, exec_lo, s19
	s_cbranch_execz .LBB0_338
.LBB0_130:                              ;   Parent Loop BB0_32 Depth=1
                                        ;     Parent Loop BB0_85 Depth=2
                                        ; =>    This Loop Header: Depth=3
                                        ;         Child Loop BB0_138 Depth 4
	v_dual_mov_b32 v21, v87 :: v_dual_and_b32 v20, -4, v86
	v_min_u32_e32 v22, 8, v149
	v_dual_mov_b32 v150, 0 :: v_dual_and_b32 v23, 3, v86
	v_mov_b32_e32 v151, 0
	flat_load_b32 v18, v[20:21] glc
	v_add_co_u32 v22, s8, v23, v22
	s_delay_alu instid0(VALU_DEP_1) | instskip(SKIP_1) | instid1(VALU_DEP_1)
	v_add_co_ci_u32_e64 v23, null, 0, 0, s8
	s_mov_b32 s8, exec_lo
	v_cmpx_lt_u64_e32 4, v[22:23]
	s_cbranch_execz .LBB0_132
; %bb.131:                              ;   in Loop: Header=BB0_130 Depth=3
	flat_load_b32 v151, v[20:21] offset:4 glc
.LBB0_132:                              ;   in Loop: Header=BB0_130 Depth=3
	s_or_b32 exec_lo, exec_lo, s8
	s_delay_alu instid0(SALU_CYCLE_1)
	s_mov_b32 s8, exec_lo
	v_cmpx_lt_u64_e32 8, v[22:23]
	s_cbranch_execz .LBB0_134
; %bb.133:                              ;   in Loop: Header=BB0_130 Depth=3
	flat_load_b32 v150, v[20:21] offset:8 glc
.LBB0_134:                              ;   in Loop: Header=BB0_130 Depth=3
	s_or_b32 exec_lo, exec_lo, s8
	v_ashrrev_i32_e32 v85, 31, v84
	s_delay_alu instid0(VALU_DEP_1) | instskip(NEXT) | instid1(VALU_DEP_1)
	v_lshlrev_b64 v[96:97], 4, v[84:85]
	v_add_co_u32 v98, vcc_lo, v144, v96
	s_delay_alu instid0(VALU_DEP_2)
	v_add_co_ci_u32_e32 v99, vcc_lo, v145, v97, vcc_lo
	v_cmp_eq_u32_e32 vcc_lo, 0, v130
	;;#ASMSTART
	global_load_b128 v[20:23], v[98:99], off glc slc dlc
s_waitcnt vmcnt(0)

	;;#ASMEND
	s_and_saveexec_b32 s20, vcc_lo
	s_cbranch_execz .LBB0_148
; %bb.135:                              ;   in Loop: Header=BB0_130 Depth=3
	v_cmp_ne_u32_e64 s8, v64, v21
	v_cmp_ne_u32_e64 s9, v64, v23
	v_mov_b32_e32 v130, 0
	s_delay_alu instid0(VALU_DEP_2) | instskip(NEXT) | instid1(SALU_CYCLE_1)
	s_or_b32 s8, s8, s9
	s_and_saveexec_b32 s9, s8
	s_cbranch_execz .LBB0_147
; %bb.136:                              ;   in Loop: Header=BB0_130 Depth=3
	v_cndmask_b32_e64 v85, 0, 1, vcc_lo
	s_mov_b32 s21, 0
                                        ; implicit-def: $sgpr22
                                        ; implicit-def: $sgpr23
	s_branch .LBB0_138
.LBB0_137:                              ;   in Loop: Header=BB0_138 Depth=4
	s_or_b32 exec_lo, exec_lo, s24
	s_delay_alu instid0(SALU_CYCLE_1) | instskip(NEXT) | instid1(SALU_CYCLE_1)
	s_and_b32 s8, exec_lo, s8
	s_or_b32 s21, s8, s21
	s_and_not1_b32 s8, s22, exec_lo
	s_and_b32 s22, s23, exec_lo
	s_delay_alu instid0(SALU_CYCLE_1)
	s_or_b32 s22, s8, s22
	s_and_not1_b32 exec_lo, exec_lo, s21
	s_cbranch_execz .LBB0_146
.LBB0_138:                              ;   Parent Loop BB0_32 Depth=1
                                        ;     Parent Loop BB0_85 Depth=2
                                        ;       Parent Loop BB0_130 Depth=3
                                        ; =>      This Inner Loop Header: Depth=4
	s_delay_alu instid0(VALU_DEP_1)
	v_dual_mov_b32 v130, 0 :: v_dual_add_nc_u32 v85, 1, v85
	s_mov_b32 s8, -1
	s_mov_b32 s25, -1
	s_mov_b32 s24, exec_lo
	;;#ASMSTART
	global_load_b128 v[20:23], v[98:99], off glc slc dlc
s_waitcnt vmcnt(0)

	;;#ASMEND
	v_cmpx_eq_u32_e32 0x2710, v85
	s_cbranch_execz .LBB0_144
; %bb.139:                              ;   in Loop: Header=BB0_138 Depth=4
	s_cbranch_execnz .LBB0_639
; %bb.140:                              ;   in Loop: Header=BB0_138 Depth=4
	ds_load_b64 v[160:161], v0
	v_dual_mov_b32 v85, 0 :: v_dual_mov_b32 v130, 0
	s_mov_b32 s26, -1
	s_mov_b32 s25, exec_lo
	s_waitcnt vmcnt(0) lgkmcnt(0)
	s_waitcnt_vscnt null, 0x0
	flat_load_b32 v160, v[160:161] glc
	s_waitcnt vmcnt(0) lgkmcnt(0)
	buffer_gl1_inv
	buffer_gl0_inv
	v_cmpx_ne_u32_e32 0, v160
	s_cbranch_execz .LBB0_143
; %bb.141:                              ;   in Loop: Header=BB0_138 Depth=4
	ds_store_b32 v0, v160
	s_cbranch_execnz .LBB0_647
; %bb.142:                              ;   in Loop: Header=BB0_138 Depth=4
	v_mov_b32_e32 v130, 1
	s_xor_b32 s26, exec_lo, -1
.LBB0_143:                              ;   in Loop: Header=BB0_138 Depth=4
	s_or_b32 exec_lo, exec_lo, s25
	s_delay_alu instid0(SALU_CYCLE_1)
	s_or_not1_b32 s25, s26, exec_lo
.LBB0_144:                              ;   in Loop: Header=BB0_138 Depth=4
	s_or_b32 exec_lo, exec_lo, s24
	s_delay_alu instid0(SALU_CYCLE_1)
	s_or_b32 s23, s23, exec_lo
	s_and_saveexec_b32 s24, s25
	s_cbranch_execz .LBB0_137
; %bb.145:                              ;   in Loop: Header=BB0_138 Depth=4
	v_cmp_eq_u32_e32 vcc_lo, v64, v21
	v_cmp_eq_u32_e64 s8, v64, v23
	s_and_not1_b32 s23, s23, exec_lo
	s_delay_alu instid0(VALU_DEP_1) | instskip(NEXT) | instid1(SALU_CYCLE_1)
	s_and_b32 s8, vcc_lo, s8
	s_or_not1_b32 s8, s8, exec_lo
	s_branch .LBB0_137
.LBB0_146:                              ;   in Loop: Header=BB0_130 Depth=3
	s_or_b32 exec_lo, exec_lo, s21
	s_xor_b32 s8, s22, -1
	s_delay_alu instid0(SALU_CYCLE_1) | instskip(NEXT) | instid1(SALU_CYCLE_1)
	s_and_saveexec_b32 s21, s8
	s_xor_b32 s8, exec_lo, s21
	s_delay_alu instid0(SALU_CYCLE_1) | instskip(NEXT) | instid1(SALU_CYCLE_1)
	s_and_not1_saveexec_b32 s8, s8
	s_or_b32 exec_lo, exec_lo, s8
.LBB0_147:                              ;   in Loop: Header=BB0_130 Depth=3
	s_delay_alu instid0(SALU_CYCLE_1)
	s_or_b32 exec_lo, exec_lo, s9
.LBB0_148:                              ;   in Loop: Header=BB0_130 Depth=3
	s_delay_alu instid0(SALU_CYCLE_1) | instskip(SKIP_3) | instid1(VALU_DEP_1)
	s_or_b32 exec_lo, exec_lo, s20
	v_and_b32_e32 v23, 0xff, v20
	s_mov_b32 s8, 0
	s_mov_b32 s20, exec_lo
                                        ; implicit-def: $sgpr9
	v_cmpx_lt_i16_e32 0x7f, v23
	s_xor_b32 s20, exec_lo, s20
	s_cbranch_execnz .LBB0_274
; %bb.149:                              ;   in Loop: Header=BB0_130 Depth=3
	s_or_saveexec_b32 s20, s20
	v_mov_b32_e32 v21, s9
	s_xor_b32 exec_lo, exec_lo, s20
	s_cbranch_execnz .LBB0_277
.LBB0_150:                              ;   in Loop: Header=BB0_130 Depth=3
	s_or_b32 exec_lo, exec_lo, s20
	s_and_saveexec_b32 s9, s8
	s_cbranch_execz .LBB0_152
.LBB0_151:                              ;   in Loop: Header=BB0_130 Depth=3
	v_and_b32_e32 v21, 7, v20
	v_bfe_u32 v98, v20, 3, 4
	v_lshlrev_b32_e32 v99, 24, v20
	s_delay_alu instid0(VALU_DEP_3) | instskip(NEXT) | instid1(VALU_DEP_3)
	v_clz_i32_u32_e32 v23, v21
	v_cmp_eq_u32_e32 vcc_lo, 0, v98
	s_delay_alu instid0(VALU_DEP_2) | instskip(NEXT) | instid1(VALU_DEP_1)
	v_min_u32_e32 v23, 32, v23
	v_subrev_nc_u32_e32 v85, 28, v23
	v_sub_nc_u32_e32 v23, 29, v23
	s_delay_alu instid0(VALU_DEP_2) | instskip(NEXT) | instid1(VALU_DEP_2)
	v_lshlrev_b32_e32 v85, v85, v20
	v_cndmask_b32_e32 v23, v98, v23, vcc_lo
	s_delay_alu instid0(VALU_DEP_2) | instskip(NEXT) | instid1(VALU_DEP_2)
	v_and_b32_e32 v85, 7, v85
	v_lshl_add_u32 v23, v23, 23, 0x3b800000
	s_delay_alu instid0(VALU_DEP_2) | instskip(SKIP_1) | instid1(VALU_DEP_2)
	v_cndmask_b32_e32 v21, v21, v85, vcc_lo
	v_and_b32_e32 v85, 0x80000000, v99
	v_lshlrev_b32_e32 v21, 20, v21
	s_delay_alu instid0(VALU_DEP_1)
	v_or3_b32 v21, v85, v23, v21
.LBB0_152:                              ;   in Loop: Header=BB0_130 Depth=3
	s_or_b32 exec_lo, exec_lo, s9
	v_lshlrev_b32_e32 v85, 3, v86
	s_mov_b32 s8, 0
	s_mov_b32 s20, exec_lo
                                        ; implicit-def: $sgpr9
	s_waitcnt vmcnt(0) lgkmcnt(0)
	s_delay_alu instid0(VALU_DEP_1) | instskip(NEXT) | instid1(VALU_DEP_1)
	v_alignbit_b32 v98, v151, v18, v85
	v_and_b32_e32 v23, 0xff, v98
	s_delay_alu instid0(VALU_DEP_1)
	v_cmpx_lt_i16_e32 0x7f, v23
	s_xor_b32 s20, exec_lo, s20
	s_cbranch_execnz .LBB0_278
; %bb.153:                              ;   in Loop: Header=BB0_130 Depth=3
	s_or_saveexec_b32 s20, s20
	v_mov_b32_e32 v18, s9
	s_xor_b32 exec_lo, exec_lo, s20
	s_cbranch_execnz .LBB0_281
.LBB0_154:                              ;   in Loop: Header=BB0_130 Depth=3
	s_or_b32 exec_lo, exec_lo, s20
	s_and_saveexec_b32 s9, s8
	s_cbranch_execz .LBB0_156
.LBB0_155:                              ;   in Loop: Header=BB0_130 Depth=3
	v_bfe_u32 v160, v98, 3, 4
	s_delay_alu instid0(VALU_DEP_1) | instskip(SKIP_1) | instid1(VALU_DEP_1)
	v_cmp_eq_u32_e32 vcc_lo, 0, v160
	v_and_b32_e32 v18, 7, v98
	v_clz_i32_u32_e32 v23, v18
	s_delay_alu instid0(VALU_DEP_1) | instskip(NEXT) | instid1(VALU_DEP_1)
	v_min_u32_e32 v23, 32, v23
	v_subrev_nc_u32_e32 v99, 28, v23
	v_sub_nc_u32_e32 v23, 29, v23
	s_delay_alu instid0(VALU_DEP_2) | instskip(NEXT) | instid1(VALU_DEP_2)
	v_lshlrev_b32_e32 v99, v99, v98
	v_cndmask_b32_e32 v23, v160, v23, vcc_lo
	s_delay_alu instid0(VALU_DEP_2) | instskip(SKIP_1) | instid1(VALU_DEP_3)
	v_and_b32_e32 v99, 7, v99
	v_lshlrev_b32_e32 v161, 24, v98
	v_lshl_add_u32 v23, v23, 23, 0x3b800000
	s_delay_alu instid0(VALU_DEP_2) | instskip(NEXT) | instid1(VALU_DEP_1)
	v_dual_cndmask_b32 v18, v18, v99 :: v_dual_and_b32 v99, 0x80000000, v161
	v_lshlrev_b32_e32 v18, 20, v18
	s_delay_alu instid0(VALU_DEP_1)
	v_or3_b32 v18, v99, v23, v18
.LBB0_156:                              ;   in Loop: Header=BB0_130 Depth=3
	s_or_b32 exec_lo, exec_lo, s9
	s_delay_alu instid0(VALU_DEP_1) | instskip(NEXT) | instid1(VALU_DEP_1)
	v_add_f32_e32 v21, v21, v18
	v_and_b32_e32 v18, 0x7f800000, v21
	s_delay_alu instid0(VALU_DEP_1)
	v_cmp_ne_u32_e32 vcc_lo, 0x7f800000, v18
	v_mov_b32_e32 v18, 0x80
	s_and_saveexec_b32 s9, vcc_lo
	s_cbranch_execz .LBB0_164
; %bb.157:                              ;   in Loop: Header=BB0_130 Depth=3
	v_mov_b32_e32 v18, 0
	s_mov_b32 s20, exec_lo
	v_cmpx_ne_u32_e32 0, v21
	s_cbranch_execz .LBB0_163
; %bb.158:                              ;   in Loop: Header=BB0_130 Depth=3
	v_bfe_u32 v18, v21, 23, 8
	v_and_b32_e32 v23, 0x7fffff, v21
	s_delay_alu instid0(VALU_DEP_2) | instskip(SKIP_1) | instid1(VALU_DEP_3)
	v_sub_nc_u32_e32 v99, 0x78, v18
	v_cmp_gt_u32_e32 vcc_lo, 0x79, v18
	v_or_b32_e32 v160, 0x800000, v23
	s_delay_alu instid0(VALU_DEP_3) | instskip(SKIP_2) | instid1(VALU_DEP_3)
	v_cndmask_b32_e32 v99, 0, v99, vcc_lo
	v_cmp_eq_u32_e32 vcc_lo, 0, v18
	v_add_nc_u32_e32 v18, 0xffffff89, v18
	v_cndmask_b32_e64 v99, v99, 0x77, vcc_lo
	v_cndmask_b32_e32 v23, v160, v23, vcc_lo
	s_delay_alu instid0(VALU_DEP_3) | instskip(NEXT) | instid1(VALU_DEP_3)
	v_cndmask_b32_e64 v18, v18, 0xffffff8a, vcc_lo
	v_lshl_add_u32 v160, 0x100000, v99, -1
	s_delay_alu instid0(VALU_DEP_3) | instskip(SKIP_1) | instid1(VALU_DEP_4)
	v_lshrrev_b32_e32 v161, v99, v23
	v_lshlrev_b32_e64 v163, v99, 0x80000
	v_add_nc_u32_e32 v99, v99, v18
	s_delay_alu instid0(VALU_DEP_4) | instskip(NEXT) | instid1(VALU_DEP_4)
	v_and_b32_e32 v23, v160, v23
	v_bfe_u32 v162, v161, 20, 1
	s_delay_alu instid0(VALU_DEP_2) | instskip(NEXT) | instid1(VALU_DEP_2)
	v_cmp_eq_u32_e64 s8, v23, v163
	v_add_nc_u32_e32 v160, -1, v162
	s_delay_alu instid0(VALU_DEP_1) | instskip(SKIP_2) | instid1(VALU_DEP_2)
	v_cndmask_b32_e64 v23, 0, v160, s8
	v_lshrrev_b32_e32 v160, 23, v161
	s_mov_b32 s8, exec_lo
	v_add_nc_u32_e32 v23, v23, v161
	s_delay_alu instid0(VALU_DEP_2) | instskip(NEXT) | instid1(VALU_DEP_2)
	v_xor_b32_e32 v160, 1, v160
	v_and_b32_e32 v18, 0xfffff, v23
	s_delay_alu instid0(VALU_DEP_1) | instskip(NEXT) | instid1(VALU_DEP_3)
	v_add_nc_u32_e32 v23, v18, v161
                                        ; implicit-def: $vgpr18
	v_cmpx_ne_u32_e64 v99, v160
	s_xor_b32 s8, exec_lo, s8
; %bb.159:                              ;   in Loop: Header=BB0_130 Depth=3
	s_delay_alu instid0(VALU_DEP_2) | instskip(SKIP_2) | instid1(VALU_DEP_2)
	v_cmp_lt_u32_e32 vcc_lo, 0xffffff, v23
	v_sub_nc_u32_e32 v18, v99, v160
	v_cndmask_b32_e64 v99, 0, 1, vcc_lo
	v_add_co_ci_u32_e32 v18, vcc_lo, 0, v18, vcc_lo
	s_delay_alu instid0(VALU_DEP_2)
	v_lshrrev_b32_e32 v23, v99, v23
; %bb.160:                              ;   in Loop: Header=BB0_130 Depth=3
	s_and_not1_saveexec_b32 s8, s8
; %bb.161:                              ;   in Loop: Header=BB0_130 Depth=3
	s_delay_alu instid0(VALU_DEP_1)
	v_bfe_u32 v18, v23, 23, 1
; %bb.162:                              ;   in Loop: Header=BB0_130 Depth=3
	s_or_b32 exec_lo, exec_lo, s8
	v_lshrrev_b32_e32 v23, 20, v23
	s_delay_alu instid0(VALU_DEP_2) | instskip(SKIP_2) | instid1(VALU_DEP_4)
	v_cmp_gt_i32_e32 vcc_lo, 16, v18
	v_lshrrev_b32_e32 v21, 24, v21
	v_min_i32_e32 v99, 15, v18
	v_cndmask_b32_e32 v23, 7, v23, vcc_lo
	s_delay_alu instid0(VALU_DEP_3) | instskip(NEXT) | instid1(VALU_DEP_3)
	v_and_b32_e32 v21, 0x80, v21
	v_lshlrev_b32_e32 v99, 3, v99
	s_delay_alu instid0(VALU_DEP_3) | instskip(SKIP_1) | instid1(VALU_DEP_2)
	v_and_b32_e32 v160, 7, v23
	v_or_b32_e32 v18, v18, v23
	v_or3_b32 v21, v99, v21, v160
	s_delay_alu instid0(VALU_DEP_2) | instskip(NEXT) | instid1(VALU_DEP_2)
	v_cmp_ne_u32_e32 vcc_lo, 0, v18
	v_cndmask_b32_e32 v18, 0, v21, vcc_lo
.LBB0_163:                              ;   in Loop: Header=BB0_130 Depth=3
	s_or_b32 exec_lo, exec_lo, s20
.LBB0_164:                              ;   in Loop: Header=BB0_130 Depth=3
	s_delay_alu instid0(SALU_CYCLE_1) | instskip(SKIP_3) | instid1(VALU_DEP_1)
	s_or_b32 exec_lo, exec_lo, s9
	v_lshrrev_b16 v23, 8, v20
	s_mov_b32 s8, 0
	s_mov_b32 s20, exec_lo
                                        ; implicit-def: $sgpr9
	v_cmpx_lt_i16_e32 0x7f, v23
	s_xor_b32 s20, exec_lo, s20
	s_cbranch_execnz .LBB0_282
; %bb.165:                              ;   in Loop: Header=BB0_130 Depth=3
	s_or_saveexec_b32 s20, s20
	v_mov_b32_e32 v21, s9
	s_xor_b32 exec_lo, exec_lo, s20
	s_cbranch_execnz .LBB0_285
.LBB0_166:                              ;   in Loop: Header=BB0_130 Depth=3
	s_or_b32 exec_lo, exec_lo, s20
	s_and_saveexec_b32 s9, s8
	s_cbranch_execz .LBB0_168
.LBB0_167:                              ;   in Loop: Header=BB0_130 Depth=3
	v_and_b32_e32 v21, 0xffff, v23
	v_lshlrev_b32_e32 v23, 24, v23
	s_delay_alu instid0(VALU_DEP_2) | instskip(NEXT) | instid1(VALU_DEP_2)
	v_and_b32_e32 v99, 7, v21
	v_and_b32_e32 v23, 0x80000000, v23
	s_delay_alu instid0(VALU_DEP_2) | instskip(NEXT) | instid1(VALU_DEP_1)
	v_clz_i32_u32_e32 v160, v99
	v_min_u32_e32 v160, 32, v160
	s_delay_alu instid0(VALU_DEP_1) | instskip(SKIP_1) | instid1(VALU_DEP_2)
	v_subrev_nc_u32_e32 v161, 28, v160
	v_sub_nc_u32_e32 v160, 29, v160
	v_lshlrev_b32_e32 v161, v161, v21
	v_bfe_u32 v21, v21, 3, 4
	s_delay_alu instid0(VALU_DEP_2) | instskip(NEXT) | instid1(VALU_DEP_2)
	v_and_b32_e32 v161, 7, v161
	v_cmp_eq_u32_e32 vcc_lo, 0, v21
	v_cndmask_b32_e32 v21, v21, v160, vcc_lo
	s_delay_alu instid0(VALU_DEP_3) | instskip(NEXT) | instid1(VALU_DEP_2)
	v_cndmask_b32_e32 v99, v99, v161, vcc_lo
	v_lshl_add_u32 v21, v21, 23, 0x3b800000
	s_delay_alu instid0(VALU_DEP_2) | instskip(NEXT) | instid1(VALU_DEP_1)
	v_lshlrev_b32_e32 v99, 20, v99
	v_or3_b32 v21, v23, v21, v99
.LBB0_168:                              ;   in Loop: Header=BB0_130 Depth=3
	s_or_b32 exec_lo, exec_lo, s9
	v_lshrrev_b16 v23, 8, v98
	s_mov_b32 s8, 0
	s_mov_b32 s20, exec_lo
                                        ; implicit-def: $sgpr9
	s_delay_alu instid0(VALU_DEP_1)
	v_cmpx_lt_i16_e32 0x7f, v23
	s_xor_b32 s20, exec_lo, s20
	s_cbranch_execnz .LBB0_286
; %bb.169:                              ;   in Loop: Header=BB0_130 Depth=3
	s_or_saveexec_b32 s20, s20
	v_mov_b32_e32 v99, s9
	s_xor_b32 exec_lo, exec_lo, s20
	s_cbranch_execnz .LBB0_289
.LBB0_170:                              ;   in Loop: Header=BB0_130 Depth=3
	s_or_b32 exec_lo, exec_lo, s20
	s_and_saveexec_b32 s9, s8
	s_cbranch_execz .LBB0_172
.LBB0_171:                              ;   in Loop: Header=BB0_130 Depth=3
	v_and_b32_e32 v99, 0xffff, v23
	v_lshlrev_b32_e32 v23, 24, v23
	s_delay_alu instid0(VALU_DEP_2) | instskip(NEXT) | instid1(VALU_DEP_2)
	v_and_b32_e32 v160, 7, v99
	v_and_b32_e32 v23, 0x80000000, v23
	s_delay_alu instid0(VALU_DEP_2) | instskip(NEXT) | instid1(VALU_DEP_1)
	v_clz_i32_u32_e32 v161, v160
	v_min_u32_e32 v161, 32, v161
	s_delay_alu instid0(VALU_DEP_1) | instskip(SKIP_1) | instid1(VALU_DEP_2)
	v_subrev_nc_u32_e32 v162, 28, v161
	v_sub_nc_u32_e32 v161, 29, v161
	v_lshlrev_b32_e32 v162, v162, v99
	v_bfe_u32 v99, v99, 3, 4
	s_delay_alu instid0(VALU_DEP_2) | instskip(NEXT) | instid1(VALU_DEP_2)
	v_and_b32_e32 v162, 7, v162
	v_cmp_eq_u32_e32 vcc_lo, 0, v99
	s_delay_alu instid0(VALU_DEP_2) | instskip(NEXT) | instid1(VALU_DEP_1)
	v_dual_cndmask_b32 v99, v99, v161 :: v_dual_cndmask_b32 v160, v160, v162
	v_lshl_add_u32 v99, v99, 23, 0x3b800000
	s_delay_alu instid0(VALU_DEP_2) | instskip(NEXT) | instid1(VALU_DEP_1)
	v_lshlrev_b32_e32 v160, 20, v160
	v_or3_b32 v99, v23, v99, v160
.LBB0_172:                              ;   in Loop: Header=BB0_130 Depth=3
	s_or_b32 exec_lo, exec_lo, s9
	s_delay_alu instid0(VALU_DEP_1) | instskip(NEXT) | instid1(VALU_DEP_1)
	v_add_f32_e32 v23, v21, v99
	v_and_b32_e32 v21, 0x7f800000, v23
	s_delay_alu instid0(VALU_DEP_1)
	v_cmp_ne_u32_e32 vcc_lo, 0x7f800000, v21
	v_mov_b32_e32 v21, 0x80
	s_and_saveexec_b32 s9, vcc_lo
	s_cbranch_execz .LBB0_180
; %bb.173:                              ;   in Loop: Header=BB0_130 Depth=3
	v_mov_b32_e32 v21, 0
	s_mov_b32 s20, exec_lo
	v_cmpx_ne_u32_e32 0, v23
	s_cbranch_execz .LBB0_179
; %bb.174:                              ;   in Loop: Header=BB0_130 Depth=3
	v_bfe_u32 v21, v23, 23, 8
	s_delay_alu instid0(VALU_DEP_1) | instskip(SKIP_1) | instid1(VALU_DEP_2)
	v_sub_nc_u32_e32 v160, 0x78, v21
	v_cmp_gt_u32_e32 vcc_lo, 0x79, v21
	v_dual_cndmask_b32 v160, 0, v160 :: v_dual_and_b32 v99, 0x7fffff, v23
	s_delay_alu instid0(VALU_DEP_1) | instskip(SKIP_2) | instid1(VALU_DEP_4)
	v_or_b32_e32 v161, 0x800000, v99
	v_cmp_eq_u32_e32 vcc_lo, 0, v21
	v_add_nc_u32_e32 v21, 0xffffff89, v21
	v_cndmask_b32_e64 v160, v160, 0x77, vcc_lo
	s_delay_alu instid0(VALU_DEP_2) | instskip(SKIP_1) | instid1(VALU_DEP_3)
	v_cndmask_b32_e64 v21, v21, 0xffffff8a, vcc_lo
	v_cndmask_b32_e32 v99, v161, v99, vcc_lo
	v_lshl_add_u32 v161, 0x100000, v160, -1
	v_lshlrev_b32_e64 v164, v160, 0x80000
	s_delay_alu instid0(VALU_DEP_3) | instskip(SKIP_1) | instid1(VALU_DEP_4)
	v_lshrrev_b32_e32 v162, v160, v99
	v_add_nc_u32_e32 v160, v160, v21
	v_and_b32_e32 v99, v161, v99
	s_delay_alu instid0(VALU_DEP_3) | instskip(NEXT) | instid1(VALU_DEP_2)
	v_bfe_u32 v163, v162, 20, 1
	v_cmp_eq_u32_e64 s8, v99, v164
	s_delay_alu instid0(VALU_DEP_2) | instskip(NEXT) | instid1(VALU_DEP_1)
	v_add_nc_u32_e32 v161, -1, v163
	v_cndmask_b32_e64 v99, 0, v161, s8
	v_lshrrev_b32_e32 v161, 23, v162
	s_mov_b32 s8, exec_lo
	s_delay_alu instid0(VALU_DEP_2) | instskip(NEXT) | instid1(VALU_DEP_2)
	v_add_nc_u32_e32 v99, v99, v162
	v_xor_b32_e32 v161, 1, v161
	s_delay_alu instid0(VALU_DEP_2) | instskip(NEXT) | instid1(VALU_DEP_1)
	v_and_b32_e32 v21, 0xfffff, v99
	v_add_nc_u32_e32 v99, v21, v162
                                        ; implicit-def: $vgpr21
	s_delay_alu instid0(VALU_DEP_3)
	v_cmpx_ne_u32_e64 v160, v161
	s_xor_b32 s8, exec_lo, s8
; %bb.175:                              ;   in Loop: Header=BB0_130 Depth=3
	s_delay_alu instid0(VALU_DEP_2) | instskip(SKIP_2) | instid1(VALU_DEP_2)
	v_cmp_lt_u32_e32 vcc_lo, 0xffffff, v99
	v_sub_nc_u32_e32 v21, v160, v161
	v_cndmask_b32_e64 v160, 0, 1, vcc_lo
	v_add_co_ci_u32_e32 v21, vcc_lo, 0, v21, vcc_lo
	s_delay_alu instid0(VALU_DEP_2)
	v_lshrrev_b32_e32 v99, v160, v99
; %bb.176:                              ;   in Loop: Header=BB0_130 Depth=3
	s_and_not1_saveexec_b32 s8, s8
; %bb.177:                              ;   in Loop: Header=BB0_130 Depth=3
	s_delay_alu instid0(VALU_DEP_1)
	v_bfe_u32 v21, v99, 23, 1
; %bb.178:                              ;   in Loop: Header=BB0_130 Depth=3
	s_or_b32 exec_lo, exec_lo, s8
	v_lshrrev_b32_e32 v99, 20, v99
	s_delay_alu instid0(VALU_DEP_2) | instskip(SKIP_2) | instid1(VALU_DEP_4)
	v_cmp_gt_i32_e32 vcc_lo, 16, v21
	v_lshrrev_b32_e32 v23, 24, v23
	v_min_i32_e32 v160, 15, v21
	v_cndmask_b32_e32 v99, 7, v99, vcc_lo
	s_delay_alu instid0(VALU_DEP_3) | instskip(NEXT) | instid1(VALU_DEP_3)
	v_and_b32_e32 v23, 0x80, v23
	v_lshlrev_b32_e32 v160, 3, v160
	s_delay_alu instid0(VALU_DEP_3) | instskip(SKIP_1) | instid1(VALU_DEP_2)
	v_and_b32_e32 v161, 7, v99
	v_or_b32_e32 v21, v21, v99
	v_or3_b32 v23, v160, v23, v161
	s_delay_alu instid0(VALU_DEP_2) | instskip(NEXT) | instid1(VALU_DEP_2)
	v_cmp_ne_u32_e32 vcc_lo, 0, v21
	v_cndmask_b32_e32 v21, 0, v23, vcc_lo
.LBB0_179:                              ;   in Loop: Header=BB0_130 Depth=3
	s_or_b32 exec_lo, exec_lo, s20
.LBB0_180:                              ;   in Loop: Header=BB0_130 Depth=3
	s_delay_alu instid0(SALU_CYCLE_1) | instskip(SKIP_3) | instid1(VALU_DEP_1)
	s_or_b32 exec_lo, exec_lo, s9
	v_lshrrev_b32_e32 v99, 16, v20
	s_mov_b32 s8, 0
	s_mov_b32 s20, exec_lo
                                        ; implicit-def: $sgpr9
	v_and_b32_e32 v160, 0xff, v99
	s_delay_alu instid0(VALU_DEP_1)
	v_cmpx_lt_i16_e64 0x7f, v160
	s_xor_b32 s20, exec_lo, s20
	s_cbranch_execnz .LBB0_290
; %bb.181:                              ;   in Loop: Header=BB0_130 Depth=3
	s_or_saveexec_b32 s20, s20
	v_mov_b32_e32 v23, s9
	s_xor_b32 exec_lo, exec_lo, s20
	s_cbranch_execnz .LBB0_293
.LBB0_182:                              ;   in Loop: Header=BB0_130 Depth=3
	s_or_b32 exec_lo, exec_lo, s20
	s_and_saveexec_b32 s9, s8
	s_cbranch_execz .LBB0_184
.LBB0_183:                              ;   in Loop: Header=BB0_130 Depth=3
	v_bfe_u32 v23, v20, 16, 3
	s_delay_alu instid0(VALU_DEP_1) | instskip(NEXT) | instid1(VALU_DEP_1)
	v_clz_i32_u32_e32 v160, v23
	v_min_u32_e32 v160, 32, v160
	s_delay_alu instid0(VALU_DEP_1) | instskip(SKIP_1) | instid1(VALU_DEP_2)
	v_subrev_nc_u32_e32 v161, 28, v160
	v_sub_nc_u32_e32 v160, 29, v160
	v_lshlrev_b32_e32 v99, v161, v99
	v_bfe_u32 v161, v20, 19, 4
	s_delay_alu instid0(VALU_DEP_1) | instskip(NEXT) | instid1(VALU_DEP_3)
	v_cmp_eq_u32_e32 vcc_lo, 0, v161
	v_dual_cndmask_b32 v160, v161, v160 :: v_dual_and_b32 v99, 7, v99
	s_delay_alu instid0(VALU_DEP_1) | instskip(NEXT) | instid1(VALU_DEP_2)
	v_dual_cndmask_b32 v23, v23, v99 :: v_dual_lshlrev_b32 v162, 8, v20
	v_lshl_add_u32 v160, v160, 23, 0x3b800000
	s_delay_alu instid0(VALU_DEP_2) | instskip(NEXT) | instid1(VALU_DEP_3)
	v_and_b32_e32 v99, 0x80000000, v162
	v_lshlrev_b32_e32 v23, 20, v23
	s_delay_alu instid0(VALU_DEP_1)
	v_or3_b32 v23, v99, v160, v23
.LBB0_184:                              ;   in Loop: Header=BB0_130 Depth=3
	s_or_b32 exec_lo, exec_lo, s9
	v_lshrrev_b32_e32 v99, 16, v98
	s_mov_b32 s8, 0
	s_mov_b32 s20, exec_lo
                                        ; implicit-def: $sgpr9
	s_delay_alu instid0(VALU_DEP_1) | instskip(NEXT) | instid1(VALU_DEP_1)
	v_and_b32_e32 v161, 0xff, v99
	v_cmpx_lt_i16_e64 0x7f, v161
	s_xor_b32 s20, exec_lo, s20
	s_cbranch_execnz .LBB0_294
; %bb.185:                              ;   in Loop: Header=BB0_130 Depth=3
	s_or_saveexec_b32 s20, s20
	v_mov_b32_e32 v160, s9
	s_xor_b32 exec_lo, exec_lo, s20
	s_cbranch_execnz .LBB0_297
.LBB0_186:                              ;   in Loop: Header=BB0_130 Depth=3
	s_or_b32 exec_lo, exec_lo, s20
	s_and_saveexec_b32 s9, s8
	s_cbranch_execz .LBB0_188
.LBB0_187:                              ;   in Loop: Header=BB0_130 Depth=3
	v_bfe_u32 v160, v98, 16, 3
	v_lshlrev_b32_e32 v163, 8, v98
	s_delay_alu instid0(VALU_DEP_2) | instskip(NEXT) | instid1(VALU_DEP_1)
	v_clz_i32_u32_e32 v161, v160
	v_min_u32_e32 v161, 32, v161
	s_delay_alu instid0(VALU_DEP_1) | instskip(SKIP_1) | instid1(VALU_DEP_2)
	v_subrev_nc_u32_e32 v162, 28, v161
	v_sub_nc_u32_e32 v161, 29, v161
	v_lshlrev_b32_e32 v99, v162, v99
	v_bfe_u32 v162, v98, 19, 4
	s_delay_alu instid0(VALU_DEP_2) | instskip(NEXT) | instid1(VALU_DEP_2)
	v_and_b32_e32 v99, 7, v99
	v_cmp_eq_u32_e32 vcc_lo, 0, v162
	v_cndmask_b32_e32 v161, v162, v161, vcc_lo
	s_delay_alu instid0(VALU_DEP_3) | instskip(SKIP_1) | instid1(VALU_DEP_3)
	v_cndmask_b32_e32 v99, v160, v99, vcc_lo
	v_and_b32_e32 v160, 0x80000000, v163
	v_lshl_add_u32 v161, v161, 23, 0x3b800000
	s_delay_alu instid0(VALU_DEP_3) | instskip(NEXT) | instid1(VALU_DEP_1)
	v_lshlrev_b32_e32 v99, 20, v99
	v_or3_b32 v160, v160, v161, v99
.LBB0_188:                              ;   in Loop: Header=BB0_130 Depth=3
	s_or_b32 exec_lo, exec_lo, s9
	s_delay_alu instid0(VALU_DEP_1) | instskip(NEXT) | instid1(VALU_DEP_1)
	v_add_f32_e32 v99, v23, v160
	v_and_b32_e32 v23, 0x7f800000, v99
	s_delay_alu instid0(VALU_DEP_1)
	v_cmp_ne_u32_e32 vcc_lo, 0x7f800000, v23
	v_mov_b32_e32 v23, 0x80
	s_and_saveexec_b32 s9, vcc_lo
	s_cbranch_execz .LBB0_196
; %bb.189:                              ;   in Loop: Header=BB0_130 Depth=3
	v_mov_b32_e32 v23, 0
	s_mov_b32 s20, exec_lo
	v_cmpx_ne_u32_e32 0, v99
	s_cbranch_execz .LBB0_195
; %bb.190:                              ;   in Loop: Header=BB0_130 Depth=3
	v_bfe_u32 v23, v99, 23, 8
	s_delay_alu instid0(VALU_DEP_1) | instskip(SKIP_1) | instid1(VALU_DEP_2)
	v_sub_nc_u32_e32 v161, 0x78, v23
	v_cmp_gt_u32_e32 vcc_lo, 0x79, v23
	v_dual_cndmask_b32 v161, 0, v161 :: v_dual_and_b32 v160, 0x7fffff, v99
	s_delay_alu instid0(VALU_DEP_1) | instskip(SKIP_2) | instid1(VALU_DEP_4)
	v_or_b32_e32 v162, 0x800000, v160
	v_cmp_eq_u32_e32 vcc_lo, 0, v23
	v_add_nc_u32_e32 v23, 0xffffff89, v23
	v_cndmask_b32_e64 v161, v161, 0x77, vcc_lo
	s_delay_alu instid0(VALU_DEP_4) | instskip(NEXT) | instid1(VALU_DEP_3)
	v_cndmask_b32_e32 v160, v162, v160, vcc_lo
	v_cndmask_b32_e64 v23, v23, 0xffffff8a, vcc_lo
	s_delay_alu instid0(VALU_DEP_3) | instskip(NEXT) | instid1(VALU_DEP_3)
	v_lshl_add_u32 v162, 0x100000, v161, -1
	v_lshrrev_b32_e32 v163, v161, v160
	v_lshlrev_b32_e64 v165, v161, 0x80000
	s_delay_alu instid0(VALU_DEP_4) | instskip(NEXT) | instid1(VALU_DEP_4)
	v_add_nc_u32_e32 v161, v161, v23
	v_and_b32_e32 v160, v162, v160
	s_delay_alu instid0(VALU_DEP_4) | instskip(NEXT) | instid1(VALU_DEP_2)
	v_bfe_u32 v164, v163, 20, 1
	v_cmp_eq_u32_e64 s8, v160, v165
	s_delay_alu instid0(VALU_DEP_2) | instskip(NEXT) | instid1(VALU_DEP_1)
	v_add_nc_u32_e32 v162, -1, v164
	v_cndmask_b32_e64 v160, 0, v162, s8
	v_lshrrev_b32_e32 v162, 23, v163
	s_mov_b32 s8, exec_lo
	s_delay_alu instid0(VALU_DEP_2) | instskip(NEXT) | instid1(VALU_DEP_2)
	v_add_nc_u32_e32 v160, v160, v163
	v_xor_b32_e32 v162, 1, v162
	s_delay_alu instid0(VALU_DEP_2) | instskip(NEXT) | instid1(VALU_DEP_1)
	v_and_b32_e32 v23, 0xfffff, v160
	v_add_nc_u32_e32 v160, v23, v163
                                        ; implicit-def: $vgpr23
	s_delay_alu instid0(VALU_DEP_3)
	v_cmpx_ne_u32_e64 v161, v162
	s_xor_b32 s8, exec_lo, s8
; %bb.191:                              ;   in Loop: Header=BB0_130 Depth=3
	s_delay_alu instid0(VALU_DEP_2) | instskip(SKIP_2) | instid1(VALU_DEP_2)
	v_cmp_lt_u32_e32 vcc_lo, 0xffffff, v160
	v_sub_nc_u32_e32 v23, v161, v162
	v_cndmask_b32_e64 v161, 0, 1, vcc_lo
	v_add_co_ci_u32_e32 v23, vcc_lo, 0, v23, vcc_lo
	s_delay_alu instid0(VALU_DEP_2)
	v_lshrrev_b32_e32 v160, v161, v160
; %bb.192:                              ;   in Loop: Header=BB0_130 Depth=3
	s_and_not1_saveexec_b32 s8, s8
; %bb.193:                              ;   in Loop: Header=BB0_130 Depth=3
	s_delay_alu instid0(VALU_DEP_1)
	v_bfe_u32 v23, v160, 23, 1
; %bb.194:                              ;   in Loop: Header=BB0_130 Depth=3
	s_or_b32 exec_lo, exec_lo, s8
	v_lshrrev_b32_e32 v160, 20, v160
	s_delay_alu instid0(VALU_DEP_2) | instskip(SKIP_2) | instid1(VALU_DEP_2)
	v_cmp_gt_i32_e32 vcc_lo, 16, v23
	v_lshrrev_b32_e32 v99, 24, v99
	v_min_i32_e32 v161, 15, v23
	v_dual_cndmask_b32 v160, 7, v160 :: v_dual_and_b32 v99, 0x80, v99
	s_delay_alu instid0(VALU_DEP_2) | instskip(NEXT) | instid1(VALU_DEP_2)
	v_lshlrev_b32_e32 v161, 3, v161
	v_or_b32_e32 v23, v23, v160
	s_delay_alu instid0(VALU_DEP_1) | instskip(SKIP_1) | instid1(VALU_DEP_1)
	v_cmp_ne_u32_e32 vcc_lo, 0, v23
	v_and_b32_e32 v162, 7, v160
	v_or3_b32 v99, v161, v99, v162
	s_delay_alu instid0(VALU_DEP_1)
	v_cndmask_b32_e32 v23, 0, v99, vcc_lo
.LBB0_195:                              ;   in Loop: Header=BB0_130 Depth=3
	s_or_b32 exec_lo, exec_lo, s20
.LBB0_196:                              ;   in Loop: Header=BB0_130 Depth=3
	s_delay_alu instid0(SALU_CYCLE_1) | instskip(SKIP_3) | instid1(VALU_DEP_1)
	s_or_b32 exec_lo, exec_lo, s9
	v_lshrrev_b32_e32 v160, 24, v20
	s_mov_b32 s8, 0
	s_mov_b32 s20, exec_lo
                                        ; implicit-def: $sgpr9
	v_cmpx_lt_i16_e64 0x7f, v160
	s_xor_b32 s20, exec_lo, s20
	s_cbranch_execnz .LBB0_298
; %bb.197:                              ;   in Loop: Header=BB0_130 Depth=3
	s_or_saveexec_b32 s20, s20
	v_mov_b32_e32 v99, s9
	s_xor_b32 exec_lo, exec_lo, s20
	s_cbranch_execnz .LBB0_301
.LBB0_198:                              ;   in Loop: Header=BB0_130 Depth=3
	s_or_b32 exec_lo, exec_lo, s20
	s_and_saveexec_b32 s9, s8
	s_cbranch_execz .LBB0_200
.LBB0_199:                              ;   in Loop: Header=BB0_130 Depth=3
	v_bfe_u32 v99, v20, 24, 3
	s_delay_alu instid0(VALU_DEP_1) | instskip(NEXT) | instid1(VALU_DEP_1)
	v_clz_i32_u32_e32 v161, v99
	v_min_u32_e32 v161, 32, v161
	s_delay_alu instid0(VALU_DEP_1) | instskip(SKIP_1) | instid1(VALU_DEP_2)
	v_subrev_nc_u32_e32 v162, 28, v161
	v_sub_nc_u32_e32 v161, 29, v161
	v_lshlrev_b32_e32 v160, v162, v160
	v_bfe_u32 v162, v20, 27, 4
	v_and_b32_e32 v20, 0x80000000, v20
	s_delay_alu instid0(VALU_DEP_2) | instskip(NEXT) | instid1(VALU_DEP_4)
	v_cmp_eq_u32_e32 vcc_lo, 0, v162
	v_dual_cndmask_b32 v161, v162, v161 :: v_dual_and_b32 v160, 7, v160
	s_delay_alu instid0(VALU_DEP_1) | instskip(NEXT) | instid1(VALU_DEP_2)
	v_cndmask_b32_e32 v99, v99, v160, vcc_lo
	v_lshl_add_u32 v160, v161, 23, 0x3b800000
	s_delay_alu instid0(VALU_DEP_2) | instskip(NEXT) | instid1(VALU_DEP_1)
	v_lshlrev_b32_e32 v99, 20, v99
	v_or3_b32 v99, v20, v160, v99
.LBB0_200:                              ;   in Loop: Header=BB0_130 Depth=3
	s_or_b32 exec_lo, exec_lo, s9
	v_lshrrev_b32_e32 v20, 24, v98
	s_mov_b32 s8, 0
	s_mov_b32 s20, exec_lo
                                        ; implicit-def: $sgpr9
	s_delay_alu instid0(VALU_DEP_1)
	v_cmpx_lt_i16_e32 0x7f, v20
	s_xor_b32 s20, exec_lo, s20
	s_cbranch_execnz .LBB0_302
; %bb.201:                              ;   in Loop: Header=BB0_130 Depth=3
	s_or_saveexec_b32 s20, s20
	v_mov_b32_e32 v160, s9
	s_xor_b32 exec_lo, exec_lo, s20
	s_cbranch_execnz .LBB0_305
.LBB0_202:                              ;   in Loop: Header=BB0_130 Depth=3
	s_or_b32 exec_lo, exec_lo, s20
	s_and_saveexec_b32 s9, s8
	s_cbranch_execz .LBB0_204
.LBB0_203:                              ;   in Loop: Header=BB0_130 Depth=3
	v_bfe_u32 v160, v98, 24, 3
	s_delay_alu instid0(VALU_DEP_1) | instskip(NEXT) | instid1(VALU_DEP_1)
	v_clz_i32_u32_e32 v161, v160
	v_min_u32_e32 v161, 32, v161
	s_delay_alu instid0(VALU_DEP_1) | instskip(SKIP_1) | instid1(VALU_DEP_2)
	v_subrev_nc_u32_e32 v162, 28, v161
	v_sub_nc_u32_e32 v161, 29, v161
	v_lshlrev_b32_e32 v20, v162, v20
	v_bfe_u32 v162, v98, 27, 4
	v_and_b32_e32 v98, 0x80000000, v98
	s_delay_alu instid0(VALU_DEP_2) | instskip(NEXT) | instid1(VALU_DEP_4)
	v_cmp_eq_u32_e32 vcc_lo, 0, v162
	v_dual_cndmask_b32 v161, v162, v161 :: v_dual_and_b32 v20, 7, v20
	s_delay_alu instid0(VALU_DEP_1) | instskip(NEXT) | instid1(VALU_DEP_2)
	v_cndmask_b32_e32 v20, v160, v20, vcc_lo
	v_lshl_add_u32 v160, v161, 23, 0x3b800000
	s_delay_alu instid0(VALU_DEP_2) | instskip(NEXT) | instid1(VALU_DEP_1)
	v_lshlrev_b32_e32 v20, 20, v20
	v_or3_b32 v160, v98, v160, v20
.LBB0_204:                              ;   in Loop: Header=BB0_130 Depth=3
	s_or_b32 exec_lo, exec_lo, s9
	s_delay_alu instid0(VALU_DEP_1) | instskip(NEXT) | instid1(VALU_DEP_1)
	v_add_f32_e32 v98, v99, v160
	v_and_b32_e32 v20, 0x7f800000, v98
	s_delay_alu instid0(VALU_DEP_1)
	v_cmp_ne_u32_e32 vcc_lo, 0x7f800000, v20
	v_mov_b32_e32 v20, 0x80
	s_and_saveexec_b32 s9, vcc_lo
	s_cbranch_execz .LBB0_212
; %bb.205:                              ;   in Loop: Header=BB0_130 Depth=3
	v_mov_b32_e32 v20, 0
	s_mov_b32 s20, exec_lo
	v_cmpx_ne_u32_e32 0, v98
	s_cbranch_execz .LBB0_211
; %bb.206:                              ;   in Loop: Header=BB0_130 Depth=3
	v_bfe_u32 v20, v98, 23, 8
	s_delay_alu instid0(VALU_DEP_1) | instskip(SKIP_1) | instid1(VALU_DEP_2)
	v_sub_nc_u32_e32 v160, 0x78, v20
	v_cmp_gt_u32_e32 vcc_lo, 0x79, v20
	v_dual_cndmask_b32 v160, 0, v160 :: v_dual_and_b32 v99, 0x7fffff, v98
	s_delay_alu instid0(VALU_DEP_1) | instskip(SKIP_2) | instid1(VALU_DEP_4)
	v_or_b32_e32 v161, 0x800000, v99
	v_cmp_eq_u32_e32 vcc_lo, 0, v20
	v_add_nc_u32_e32 v20, 0xffffff89, v20
	v_cndmask_b32_e64 v160, v160, 0x77, vcc_lo
	s_delay_alu instid0(VALU_DEP_4) | instskip(NEXT) | instid1(VALU_DEP_3)
	v_cndmask_b32_e32 v99, v161, v99, vcc_lo
	v_cndmask_b32_e64 v20, v20, 0xffffff8a, vcc_lo
	s_delay_alu instid0(VALU_DEP_3) | instskip(NEXT) | instid1(VALU_DEP_3)
	v_lshl_add_u32 v161, 0x100000, v160, -1
	v_lshrrev_b32_e32 v162, v160, v99
	v_lshlrev_b32_e64 v164, v160, 0x80000
	s_delay_alu instid0(VALU_DEP_4) | instskip(NEXT) | instid1(VALU_DEP_4)
	v_add_nc_u32_e32 v160, v160, v20
	v_and_b32_e32 v99, v161, v99
	s_delay_alu instid0(VALU_DEP_4) | instskip(NEXT) | instid1(VALU_DEP_2)
	v_bfe_u32 v163, v162, 20, 1
	v_cmp_eq_u32_e64 s8, v99, v164
	s_delay_alu instid0(VALU_DEP_2) | instskip(NEXT) | instid1(VALU_DEP_1)
	v_add_nc_u32_e32 v161, -1, v163
	v_cndmask_b32_e64 v99, 0, v161, s8
	v_lshrrev_b32_e32 v161, 23, v162
	s_mov_b32 s8, exec_lo
	s_delay_alu instid0(VALU_DEP_2) | instskip(NEXT) | instid1(VALU_DEP_2)
	v_add_nc_u32_e32 v99, v99, v162
	v_xor_b32_e32 v161, 1, v161
	s_delay_alu instid0(VALU_DEP_2) | instskip(NEXT) | instid1(VALU_DEP_1)
	v_and_b32_e32 v20, 0xfffff, v99
	v_add_nc_u32_e32 v99, v20, v162
                                        ; implicit-def: $vgpr20
	s_delay_alu instid0(VALU_DEP_3)
	v_cmpx_ne_u32_e64 v160, v161
	s_xor_b32 s8, exec_lo, s8
; %bb.207:                              ;   in Loop: Header=BB0_130 Depth=3
	s_delay_alu instid0(VALU_DEP_2) | instskip(SKIP_2) | instid1(VALU_DEP_2)
	v_cmp_lt_u32_e32 vcc_lo, 0xffffff, v99
	v_sub_nc_u32_e32 v20, v160, v161
	v_cndmask_b32_e64 v160, 0, 1, vcc_lo
	v_add_co_ci_u32_e32 v20, vcc_lo, 0, v20, vcc_lo
	s_delay_alu instid0(VALU_DEP_2)
	v_lshrrev_b32_e32 v99, v160, v99
; %bb.208:                              ;   in Loop: Header=BB0_130 Depth=3
	s_and_not1_saveexec_b32 s8, s8
; %bb.209:                              ;   in Loop: Header=BB0_130 Depth=3
	s_delay_alu instid0(VALU_DEP_1)
	v_bfe_u32 v20, v99, 23, 1
; %bb.210:                              ;   in Loop: Header=BB0_130 Depth=3
	s_or_b32 exec_lo, exec_lo, s8
	v_lshrrev_b32_e32 v99, 20, v99
	s_delay_alu instid0(VALU_DEP_2) | instskip(SKIP_2) | instid1(VALU_DEP_2)
	v_cmp_gt_i32_e32 vcc_lo, 16, v20
	v_lshrrev_b32_e32 v98, 24, v98
	v_min_i32_e32 v160, 15, v20
	v_dual_cndmask_b32 v99, 7, v99 :: v_dual_and_b32 v98, 0x80, v98
	s_delay_alu instid0(VALU_DEP_2) | instskip(NEXT) | instid1(VALU_DEP_2)
	v_lshlrev_b32_e32 v160, 3, v160
	v_or_b32_e32 v20, v20, v99
	s_delay_alu instid0(VALU_DEP_1) | instskip(SKIP_1) | instid1(VALU_DEP_1)
	v_cmp_ne_u32_e32 vcc_lo, 0, v20
	v_and_b32_e32 v161, 7, v99
	v_or3_b32 v98, v160, v98, v161
	s_delay_alu instid0(VALU_DEP_1)
	v_cndmask_b32_e32 v20, 0, v98, vcc_lo
.LBB0_211:                              ;   in Loop: Header=BB0_130 Depth=3
	s_or_b32 exec_lo, exec_lo, s20
.LBB0_212:                              ;   in Loop: Header=BB0_130 Depth=3
	s_delay_alu instid0(SALU_CYCLE_1) | instskip(SKIP_3) | instid1(VALU_DEP_1)
	s_or_b32 exec_lo, exec_lo, s9
	v_and_b32_e32 v99, 0xff, v22
	s_mov_b32 s8, 0
	s_mov_b32 s20, exec_lo
                                        ; implicit-def: $sgpr9
	v_cmpx_lt_i16_e32 0x7f, v99
	s_xor_b32 s20, exec_lo, s20
	s_cbranch_execnz .LBB0_306
; %bb.213:                              ;   in Loop: Header=BB0_130 Depth=3
	s_or_saveexec_b32 s20, s20
	v_mov_b32_e32 v98, s9
	s_xor_b32 exec_lo, exec_lo, s20
	s_cbranch_execnz .LBB0_309
.LBB0_214:                              ;   in Loop: Header=BB0_130 Depth=3
	s_or_b32 exec_lo, exec_lo, s20
	s_and_saveexec_b32 s9, s8
	s_cbranch_execz .LBB0_216
.LBB0_215:                              ;   in Loop: Header=BB0_130 Depth=3
	v_bfe_u32 v161, v22, 3, 4
	v_lshlrev_b32_e32 v162, 24, v22
	s_delay_alu instid0(VALU_DEP_2) | instskip(SKIP_1) | instid1(VALU_DEP_1)
	v_cmp_eq_u32_e32 vcc_lo, 0, v161
	v_and_b32_e32 v98, 7, v22
	v_clz_i32_u32_e32 v99, v98
	s_delay_alu instid0(VALU_DEP_1) | instskip(NEXT) | instid1(VALU_DEP_1)
	v_min_u32_e32 v99, 32, v99
	v_subrev_nc_u32_e32 v160, 28, v99
	v_sub_nc_u32_e32 v99, 29, v99
	s_delay_alu instid0(VALU_DEP_1) | instskip(NEXT) | instid1(VALU_DEP_1)
	v_dual_cndmask_b32 v99, v161, v99 :: v_dual_lshlrev_b32 v160, v160, v22
	v_and_b32_e32 v160, 7, v160
	s_delay_alu instid0(VALU_DEP_2) | instskip(NEXT) | instid1(VALU_DEP_2)
	v_lshl_add_u32 v99, v99, 23, 0x3b800000
	v_cndmask_b32_e32 v98, v98, v160, vcc_lo
	v_and_b32_e32 v160, 0x80000000, v162
	s_delay_alu instid0(VALU_DEP_2) | instskip(NEXT) | instid1(VALU_DEP_1)
	v_lshlrev_b32_e32 v98, 20, v98
	v_or3_b32 v98, v160, v99, v98
.LBB0_216:                              ;   in Loop: Header=BB0_130 Depth=3
	s_or_b32 exec_lo, exec_lo, s9
	v_alignbit_b32 v85, v150, v151, v85
	v_mov_b32_e32 v99, v22
	s_mov_b32 s8, 0
	s_mov_b32 s20, exec_lo
                                        ; implicit-def: $sgpr9
	s_delay_alu instid0(VALU_DEP_2) | instskip(NEXT) | instid1(VALU_DEP_1)
	v_and_b32_e32 v151, 0xff, v85
	v_cmpx_lt_i16_e64 0x7f, v151
	s_xor_b32 s20, exec_lo, s20
	s_cbranch_execnz .LBB0_310
; %bb.217:                              ;   in Loop: Header=BB0_130 Depth=3
	s_or_saveexec_b32 s20, s20
	v_mov_b32_e32 v150, s9
	s_xor_b32 exec_lo, exec_lo, s20
	s_cbranch_execnz .LBB0_313
.LBB0_218:                              ;   in Loop: Header=BB0_130 Depth=3
	s_or_b32 exec_lo, exec_lo, s20
	s_and_saveexec_b32 s9, s8
	s_cbranch_execz .LBB0_220
.LBB0_219:                              ;   in Loop: Header=BB0_130 Depth=3
	v_bfe_u32 v161, v85, 3, 4
	v_lshlrev_b32_e32 v162, 24, v85
	s_delay_alu instid0(VALU_DEP_2) | instskip(SKIP_1) | instid1(VALU_DEP_1)
	v_cmp_eq_u32_e32 vcc_lo, 0, v161
	v_and_b32_e32 v150, 7, v85
	v_clz_i32_u32_e32 v151, v150
	s_delay_alu instid0(VALU_DEP_1) | instskip(NEXT) | instid1(VALU_DEP_1)
	v_min_u32_e32 v151, 32, v151
	v_subrev_nc_u32_e32 v160, 28, v151
	v_sub_nc_u32_e32 v151, 29, v151
	s_delay_alu instid0(VALU_DEP_1) | instskip(NEXT) | instid1(VALU_DEP_1)
	v_dual_cndmask_b32 v151, v161, v151 :: v_dual_lshlrev_b32 v160, v160, v85
	v_and_b32_e32 v160, 7, v160
	s_delay_alu instid0(VALU_DEP_2) | instskip(NEXT) | instid1(VALU_DEP_2)
	v_lshl_add_u32 v151, v151, 23, 0x3b800000
	v_cndmask_b32_e32 v150, v150, v160, vcc_lo
	v_and_b32_e32 v160, 0x80000000, v162
	s_delay_alu instid0(VALU_DEP_2) | instskip(NEXT) | instid1(VALU_DEP_1)
	v_lshlrev_b32_e32 v150, 20, v150
	v_or3_b32 v150, v160, v151, v150
.LBB0_220:                              ;   in Loop: Header=BB0_130 Depth=3
	s_or_b32 exec_lo, exec_lo, s9
	s_delay_alu instid0(VALU_DEP_1) | instskip(NEXT) | instid1(VALU_DEP_1)
	v_add_f32_e32 v150, v98, v150
	v_and_b32_e32 v98, 0x7f800000, v150
	s_delay_alu instid0(VALU_DEP_1)
	v_cmp_ne_u32_e32 vcc_lo, 0x7f800000, v98
	v_mov_b32_e32 v98, 0x80
	s_and_saveexec_b32 s9, vcc_lo
	s_cbranch_execz .LBB0_228
; %bb.221:                              ;   in Loop: Header=BB0_130 Depth=3
	v_mov_b32_e32 v98, 0
	s_mov_b32 s20, exec_lo
	v_cmpx_ne_u32_e32 0, v150
	s_cbranch_execz .LBB0_227
; %bb.222:                              ;   in Loop: Header=BB0_130 Depth=3
	v_bfe_u32 v98, v150, 23, 8
	s_delay_alu instid0(VALU_DEP_1) | instskip(SKIP_1) | instid1(VALU_DEP_2)
	v_sub_nc_u32_e32 v160, 0x78, v98
	v_cmp_gt_u32_e32 vcc_lo, 0x79, v98
	v_dual_cndmask_b32 v160, 0, v160 :: v_dual_and_b32 v151, 0x7fffff, v150
	s_delay_alu instid0(VALU_DEP_1) | instskip(SKIP_2) | instid1(VALU_DEP_4)
	v_or_b32_e32 v161, 0x800000, v151
	v_cmp_eq_u32_e32 vcc_lo, 0, v98
	v_add_nc_u32_e32 v98, 0xffffff89, v98
	v_cndmask_b32_e64 v160, v160, 0x77, vcc_lo
	s_delay_alu instid0(VALU_DEP_4) | instskip(NEXT) | instid1(VALU_DEP_3)
	v_cndmask_b32_e32 v151, v161, v151, vcc_lo
	v_cndmask_b32_e64 v98, v98, 0xffffff8a, vcc_lo
	s_delay_alu instid0(VALU_DEP_3) | instskip(NEXT) | instid1(VALU_DEP_3)
	v_lshl_add_u32 v161, 0x100000, v160, -1
	v_lshrrev_b32_e32 v162, v160, v151
	v_lshlrev_b32_e64 v164, v160, 0x80000
	s_delay_alu instid0(VALU_DEP_4) | instskip(NEXT) | instid1(VALU_DEP_4)
	v_add_nc_u32_e32 v160, v160, v98
	v_and_b32_e32 v151, v161, v151
	s_delay_alu instid0(VALU_DEP_4) | instskip(NEXT) | instid1(VALU_DEP_2)
	v_bfe_u32 v163, v162, 20, 1
	v_cmp_eq_u32_e64 s8, v151, v164
	s_delay_alu instid0(VALU_DEP_2) | instskip(NEXT) | instid1(VALU_DEP_1)
	v_add_nc_u32_e32 v161, -1, v163
	v_cndmask_b32_e64 v151, 0, v161, s8
	v_lshrrev_b32_e32 v161, 23, v162
	s_mov_b32 s8, exec_lo
	s_delay_alu instid0(VALU_DEP_2) | instskip(NEXT) | instid1(VALU_DEP_2)
	v_add_nc_u32_e32 v151, v151, v162
	v_xor_b32_e32 v161, 1, v161
	s_delay_alu instid0(VALU_DEP_2) | instskip(NEXT) | instid1(VALU_DEP_1)
	v_and_b32_e32 v98, 0xfffff, v151
	v_add_nc_u32_e32 v151, v98, v162
                                        ; implicit-def: $vgpr98
	s_delay_alu instid0(VALU_DEP_3)
	v_cmpx_ne_u32_e64 v160, v161
	s_xor_b32 s8, exec_lo, s8
; %bb.223:                              ;   in Loop: Header=BB0_130 Depth=3
	s_delay_alu instid0(VALU_DEP_2) | instskip(SKIP_2) | instid1(VALU_DEP_2)
	v_cmp_lt_u32_e32 vcc_lo, 0xffffff, v151
	v_sub_nc_u32_e32 v98, v160, v161
	v_cndmask_b32_e64 v160, 0, 1, vcc_lo
	v_add_co_ci_u32_e32 v98, vcc_lo, 0, v98, vcc_lo
	s_delay_alu instid0(VALU_DEP_2)
	v_lshrrev_b32_e32 v151, v160, v151
; %bb.224:                              ;   in Loop: Header=BB0_130 Depth=3
	s_and_not1_saveexec_b32 s8, s8
; %bb.225:                              ;   in Loop: Header=BB0_130 Depth=3
	s_delay_alu instid0(VALU_DEP_1)
	v_bfe_u32 v98, v151, 23, 1
; %bb.226:                              ;   in Loop: Header=BB0_130 Depth=3
	s_or_b32 exec_lo, exec_lo, s8
	v_lshrrev_b32_e32 v151, 20, v151
	s_delay_alu instid0(VALU_DEP_2) | instskip(SKIP_2) | instid1(VALU_DEP_2)
	v_cmp_gt_i32_e32 vcc_lo, 16, v98
	v_lshrrev_b32_e32 v150, 24, v150
	v_min_i32_e32 v160, 15, v98
	v_dual_cndmask_b32 v151, 7, v151 :: v_dual_and_b32 v150, 0x80, v150
	s_delay_alu instid0(VALU_DEP_2) | instskip(NEXT) | instid1(VALU_DEP_2)
	v_lshlrev_b32_e32 v160, 3, v160
	v_or_b32_e32 v98, v98, v151
	s_delay_alu instid0(VALU_DEP_1) | instskip(SKIP_1) | instid1(VALU_DEP_1)
	v_cmp_ne_u32_e32 vcc_lo, 0, v98
	v_and_b32_e32 v161, 7, v151
	v_or3_b32 v150, v160, v150, v161
	s_delay_alu instid0(VALU_DEP_1)
	v_cndmask_b32_e32 v98, 0, v150, vcc_lo
.LBB0_227:                              ;   in Loop: Header=BB0_130 Depth=3
	s_or_b32 exec_lo, exec_lo, s20
.LBB0_228:                              ;   in Loop: Header=BB0_130 Depth=3
	s_delay_alu instid0(SALU_CYCLE_1) | instskip(SKIP_3) | instid1(VALU_DEP_1)
	s_or_b32 exec_lo, exec_lo, s9
	v_lshrrev_b16 v150, 8, v99
	s_mov_b32 s8, 0
	s_mov_b32 s20, exec_lo
                                        ; implicit-def: $sgpr9
	v_cmpx_lt_i16_e64 0x7f, v150
	s_xor_b32 s20, exec_lo, s20
	s_cbranch_execnz .LBB0_314
; %bb.229:                              ;   in Loop: Header=BB0_130 Depth=3
	s_or_saveexec_b32 s20, s20
	v_mov_b32_e32 v99, s9
	s_xor_b32 exec_lo, exec_lo, s20
	s_cbranch_execnz .LBB0_317
.LBB0_230:                              ;   in Loop: Header=BB0_130 Depth=3
	s_or_b32 exec_lo, exec_lo, s20
	s_and_saveexec_b32 s9, s8
	s_cbranch_execz .LBB0_232
.LBB0_231:                              ;   in Loop: Header=BB0_130 Depth=3
	v_and_b32_e32 v99, 0xffff, v150
	s_delay_alu instid0(VALU_DEP_1) | instskip(NEXT) | instid1(VALU_DEP_1)
	v_and_b32_e32 v151, 7, v99
	v_clz_i32_u32_e32 v160, v151
	s_delay_alu instid0(VALU_DEP_1) | instskip(NEXT) | instid1(VALU_DEP_1)
	v_min_u32_e32 v160, 32, v160
	v_subrev_nc_u32_e32 v161, 28, v160
	v_sub_nc_u32_e32 v160, 29, v160
	s_delay_alu instid0(VALU_DEP_2) | instskip(SKIP_1) | instid1(VALU_DEP_2)
	v_lshlrev_b32_e32 v161, v161, v99
	v_bfe_u32 v99, v99, 3, 4
	v_and_b32_e32 v161, 7, v161
	s_delay_alu instid0(VALU_DEP_2) | instskip(SKIP_1) | instid1(VALU_DEP_1)
	v_cmp_eq_u32_e32 vcc_lo, 0, v99
	v_dual_cndmask_b32 v99, v99, v160 :: v_dual_lshlrev_b32 v150, 24, v150
	v_dual_cndmask_b32 v151, v151, v161 :: v_dual_and_b32 v150, 0x80000000, v150
	s_delay_alu instid0(VALU_DEP_2) | instskip(NEXT) | instid1(VALU_DEP_2)
	v_lshl_add_u32 v99, v99, 23, 0x3b800000
	v_lshlrev_b32_e32 v151, 20, v151
	s_delay_alu instid0(VALU_DEP_1)
	v_or3_b32 v99, v150, v99, v151
.LBB0_232:                              ;   in Loop: Header=BB0_130 Depth=3
	s_or_b32 exec_lo, exec_lo, s9
	v_lshrrev_b16 v150, 8, v85
	s_mov_b32 s8, 0
	s_mov_b32 s20, exec_lo
                                        ; implicit-def: $sgpr9
	s_delay_alu instid0(VALU_DEP_1)
	v_cmpx_lt_i16_e64 0x7f, v150
	s_xor_b32 s20, exec_lo, s20
	s_cbranch_execnz .LBB0_318
; %bb.233:                              ;   in Loop: Header=BB0_130 Depth=3
	s_or_saveexec_b32 s20, s20
	v_mov_b32_e32 v151, s9
	s_xor_b32 exec_lo, exec_lo, s20
	s_cbranch_execnz .LBB0_321
.LBB0_234:                              ;   in Loop: Header=BB0_130 Depth=3
	s_or_b32 exec_lo, exec_lo, s20
	s_and_saveexec_b32 s9, s8
	s_cbranch_execz .LBB0_236
.LBB0_235:                              ;   in Loop: Header=BB0_130 Depth=3
	v_and_b32_e32 v151, 0xffff, v150
	v_lshlrev_b32_e32 v150, 24, v150
	s_delay_alu instid0(VALU_DEP_2) | instskip(NEXT) | instid1(VALU_DEP_2)
	v_and_b32_e32 v160, 7, v151
	v_and_b32_e32 v150, 0x80000000, v150
	s_delay_alu instid0(VALU_DEP_2) | instskip(NEXT) | instid1(VALU_DEP_1)
	v_clz_i32_u32_e32 v161, v160
	v_min_u32_e32 v161, 32, v161
	s_delay_alu instid0(VALU_DEP_1) | instskip(SKIP_1) | instid1(VALU_DEP_2)
	v_subrev_nc_u32_e32 v162, 28, v161
	v_sub_nc_u32_e32 v161, 29, v161
	v_lshlrev_b32_e32 v162, v162, v151
	v_bfe_u32 v151, v151, 3, 4
	s_delay_alu instid0(VALU_DEP_2) | instskip(NEXT) | instid1(VALU_DEP_2)
	v_and_b32_e32 v162, 7, v162
	v_cmp_eq_u32_e32 vcc_lo, 0, v151
	s_delay_alu instid0(VALU_DEP_2) | instskip(NEXT) | instid1(VALU_DEP_1)
	v_dual_cndmask_b32 v151, v151, v161 :: v_dual_cndmask_b32 v160, v160, v162
	v_lshl_add_u32 v151, v151, 23, 0x3b800000
	s_delay_alu instid0(VALU_DEP_2) | instskip(NEXT) | instid1(VALU_DEP_1)
	v_lshlrev_b32_e32 v160, 20, v160
	v_or3_b32 v151, v150, v151, v160
.LBB0_236:                              ;   in Loop: Header=BB0_130 Depth=3
	s_or_b32 exec_lo, exec_lo, s9
	s_delay_alu instid0(VALU_DEP_1) | instskip(NEXT) | instid1(VALU_DEP_1)
	v_add_f32_e32 v150, v99, v151
	v_and_b32_e32 v99, 0x7f800000, v150
	s_delay_alu instid0(VALU_DEP_1)
	v_cmp_ne_u32_e32 vcc_lo, 0x7f800000, v99
	v_mov_b32_e32 v99, 0x8000
	s_and_saveexec_b32 s9, vcc_lo
	s_cbranch_execz .LBB0_244
; %bb.237:                              ;   in Loop: Header=BB0_130 Depth=3
	v_mov_b32_e32 v99, 0
	s_mov_b32 s20, exec_lo
	v_cmpx_ne_u32_e32 0, v150
	s_cbranch_execz .LBB0_243
; %bb.238:                              ;   in Loop: Header=BB0_130 Depth=3
	v_bfe_u32 v99, v150, 23, 8
	s_delay_alu instid0(VALU_DEP_1) | instskip(SKIP_1) | instid1(VALU_DEP_2)
	v_sub_nc_u32_e32 v160, 0x78, v99
	v_cmp_gt_u32_e32 vcc_lo, 0x79, v99
	v_dual_cndmask_b32 v160, 0, v160 :: v_dual_and_b32 v151, 0x7fffff, v150
	s_delay_alu instid0(VALU_DEP_1) | instskip(SKIP_2) | instid1(VALU_DEP_4)
	v_or_b32_e32 v161, 0x800000, v151
	v_cmp_eq_u32_e32 vcc_lo, 0, v99
	v_add_nc_u32_e32 v99, 0xffffff89, v99
	v_cndmask_b32_e64 v160, v160, 0x77, vcc_lo
	s_delay_alu instid0(VALU_DEP_4) | instskip(NEXT) | instid1(VALU_DEP_3)
	v_cndmask_b32_e32 v151, v161, v151, vcc_lo
	v_cndmask_b32_e64 v99, v99, 0xffffff8a, vcc_lo
	s_delay_alu instid0(VALU_DEP_3) | instskip(NEXT) | instid1(VALU_DEP_3)
	v_lshl_add_u32 v161, 0x100000, v160, -1
	v_lshrrev_b32_e32 v162, v160, v151
	v_lshlrev_b32_e64 v164, v160, 0x80000
	s_delay_alu instid0(VALU_DEP_4) | instskip(NEXT) | instid1(VALU_DEP_4)
	v_add_nc_u32_e32 v160, v160, v99
	v_and_b32_e32 v151, v161, v151
	s_delay_alu instid0(VALU_DEP_4) | instskip(NEXT) | instid1(VALU_DEP_2)
	v_bfe_u32 v163, v162, 20, 1
	v_cmp_eq_u32_e64 s8, v151, v164
	s_delay_alu instid0(VALU_DEP_2) | instskip(NEXT) | instid1(VALU_DEP_1)
	v_add_nc_u32_e32 v161, -1, v163
	v_cndmask_b32_e64 v151, 0, v161, s8
	v_lshrrev_b32_e32 v161, 23, v162
	s_mov_b32 s8, exec_lo
	s_delay_alu instid0(VALU_DEP_2) | instskip(NEXT) | instid1(VALU_DEP_2)
	v_add_nc_u32_e32 v151, v151, v162
	v_xor_b32_e32 v161, 1, v161
	s_delay_alu instid0(VALU_DEP_2) | instskip(NEXT) | instid1(VALU_DEP_1)
	v_and_b32_e32 v99, 0xfffff, v151
	v_add_nc_u32_e32 v151, v99, v162
                                        ; implicit-def: $vgpr99
	s_delay_alu instid0(VALU_DEP_3)
	v_cmpx_ne_u32_e64 v160, v161
	s_xor_b32 s8, exec_lo, s8
; %bb.239:                              ;   in Loop: Header=BB0_130 Depth=3
	s_delay_alu instid0(VALU_DEP_2) | instskip(SKIP_2) | instid1(VALU_DEP_2)
	v_cmp_lt_u32_e32 vcc_lo, 0xffffff, v151
	v_sub_nc_u32_e32 v99, v160, v161
	v_cndmask_b32_e64 v160, 0, 1, vcc_lo
	v_add_co_ci_u32_e32 v99, vcc_lo, 0, v99, vcc_lo
	s_delay_alu instid0(VALU_DEP_2)
	v_lshrrev_b32_e32 v151, v160, v151
; %bb.240:                              ;   in Loop: Header=BB0_130 Depth=3
	s_and_not1_saveexec_b32 s8, s8
; %bb.241:                              ;   in Loop: Header=BB0_130 Depth=3
	s_delay_alu instid0(VALU_DEP_1)
	v_bfe_u32 v99, v151, 23, 1
; %bb.242:                              ;   in Loop: Header=BB0_130 Depth=3
	s_or_b32 exec_lo, exec_lo, s8
	v_lshrrev_b32_e32 v151, 20, v151
	s_delay_alu instid0(VALU_DEP_2) | instskip(SKIP_2) | instid1(VALU_DEP_2)
	v_cmp_gt_i32_e32 vcc_lo, 16, v99
	v_min_i32_e32 v160, 15, v99
	v_lshrrev_b32_e32 v150, 24, v150
	v_dual_cndmask_b32 v151, 7, v151 :: v_dual_lshlrev_b32 v160, 3, v160
	s_delay_alu instid0(VALU_DEP_2) | instskip(NEXT) | instid1(VALU_DEP_2)
	v_and_b32_e32 v150, 0x80, v150
	v_or_b32_e32 v99, v99, v151
	v_and_b32_e32 v161, 7, v151
	s_delay_alu instid0(VALU_DEP_2) | instskip(SKIP_1) | instid1(VALU_DEP_1)
	v_cmp_ne_u32_e32 vcc_lo, 0, v99
	v_and_b32_e32 v160, 0xf8, v160
	v_or3_b32 v150, v150, v160, v161
	s_delay_alu instid0(VALU_DEP_1) | instskip(NEXT) | instid1(VALU_DEP_1)
	v_lshlrev_b32_e32 v150, 8, v150
	v_cndmask_b32_e32 v99, 0, v150, vcc_lo
.LBB0_243:                              ;   in Loop: Header=BB0_130 Depth=3
	s_or_b32 exec_lo, exec_lo, s20
.LBB0_244:                              ;   in Loop: Header=BB0_130 Depth=3
	s_delay_alu instid0(SALU_CYCLE_1) | instskip(SKIP_3) | instid1(VALU_DEP_1)
	s_or_b32 exec_lo, exec_lo, s9
	v_lshrrev_b32_e32 v151, 16, v22
	s_mov_b32 s8, 0
	s_mov_b32 s20, exec_lo
                                        ; implicit-def: $sgpr9
	v_and_b32_e32 v160, 0xff, v151
	s_delay_alu instid0(VALU_DEP_1)
	v_cmpx_lt_i16_e64 0x7f, v160
	s_xor_b32 s20, exec_lo, s20
	s_cbranch_execnz .LBB0_322
; %bb.245:                              ;   in Loop: Header=BB0_130 Depth=3
	s_or_saveexec_b32 s20, s20
	v_mov_b32_e32 v150, s9
	s_xor_b32 exec_lo, exec_lo, s20
	s_cbranch_execnz .LBB0_325
.LBB0_246:                              ;   in Loop: Header=BB0_130 Depth=3
	s_or_b32 exec_lo, exec_lo, s20
	s_and_saveexec_b32 s9, s8
	s_cbranch_execz .LBB0_248
.LBB0_247:                              ;   in Loop: Header=BB0_130 Depth=3
	v_bfe_u32 v150, v22, 16, 3
	v_lshlrev_b32_e32 v162, 8, v22
	s_delay_alu instid0(VALU_DEP_2) | instskip(NEXT) | instid1(VALU_DEP_1)
	v_clz_i32_u32_e32 v160, v150
	v_min_u32_e32 v160, 32, v160
	s_delay_alu instid0(VALU_DEP_1) | instskip(SKIP_1) | instid1(VALU_DEP_2)
	v_subrev_nc_u32_e32 v161, 28, v160
	v_sub_nc_u32_e32 v160, 29, v160
	v_lshlrev_b32_e32 v151, v161, v151
	v_bfe_u32 v161, v22, 19, 4
	s_delay_alu instid0(VALU_DEP_1) | instskip(NEXT) | instid1(VALU_DEP_3)
	v_cmp_eq_u32_e32 vcc_lo, 0, v161
	v_dual_cndmask_b32 v160, v161, v160 :: v_dual_and_b32 v151, 7, v151
	s_delay_alu instid0(VALU_DEP_1) | instskip(NEXT) | instid1(VALU_DEP_2)
	v_dual_cndmask_b32 v150, v150, v151 :: v_dual_and_b32 v151, 0x80000000, v162
	v_lshl_add_u32 v160, v160, 23, 0x3b800000
	s_delay_alu instid0(VALU_DEP_2) | instskip(NEXT) | instid1(VALU_DEP_1)
	v_lshlrev_b32_e32 v150, 20, v150
	v_or3_b32 v150, v151, v160, v150
.LBB0_248:                              ;   in Loop: Header=BB0_130 Depth=3
	s_or_b32 exec_lo, exec_lo, s9
	v_lshrrev_b32_e32 v151, 16, v85
	s_mov_b32 s8, 0
	s_mov_b32 s20, exec_lo
                                        ; implicit-def: $sgpr9
	s_delay_alu instid0(VALU_DEP_1) | instskip(NEXT) | instid1(VALU_DEP_1)
	v_and_b32_e32 v161, 0xff, v151
	v_cmpx_lt_i16_e64 0x7f, v161
	s_xor_b32 s20, exec_lo, s20
	s_cbranch_execnz .LBB0_326
; %bb.249:                              ;   in Loop: Header=BB0_130 Depth=3
	s_or_saveexec_b32 s20, s20
	v_mov_b32_e32 v160, s9
	s_xor_b32 exec_lo, exec_lo, s20
	s_cbranch_execnz .LBB0_329
.LBB0_250:                              ;   in Loop: Header=BB0_130 Depth=3
	s_or_b32 exec_lo, exec_lo, s20
	s_and_saveexec_b32 s9, s8
	s_cbranch_execz .LBB0_252
.LBB0_251:                              ;   in Loop: Header=BB0_130 Depth=3
	v_bfe_u32 v160, v85, 16, 3
	v_lshlrev_b32_e32 v163, 8, v85
	s_delay_alu instid0(VALU_DEP_2) | instskip(NEXT) | instid1(VALU_DEP_1)
	v_clz_i32_u32_e32 v161, v160
	v_min_u32_e32 v161, 32, v161
	s_delay_alu instid0(VALU_DEP_1) | instskip(SKIP_1) | instid1(VALU_DEP_2)
	v_subrev_nc_u32_e32 v162, 28, v161
	v_sub_nc_u32_e32 v161, 29, v161
	v_lshlrev_b32_e32 v151, v162, v151
	v_bfe_u32 v162, v85, 19, 4
	s_delay_alu instid0(VALU_DEP_2) | instskip(NEXT) | instid1(VALU_DEP_2)
	v_and_b32_e32 v151, 7, v151
	v_cmp_eq_u32_e32 vcc_lo, 0, v162
	v_cndmask_b32_e32 v161, v162, v161, vcc_lo
	s_delay_alu instid0(VALU_DEP_3) | instskip(SKIP_1) | instid1(VALU_DEP_3)
	v_cndmask_b32_e32 v151, v160, v151, vcc_lo
	v_and_b32_e32 v160, 0x80000000, v163
	v_lshl_add_u32 v161, v161, 23, 0x3b800000
	s_delay_alu instid0(VALU_DEP_3) | instskip(NEXT) | instid1(VALU_DEP_1)
	v_lshlrev_b32_e32 v151, 20, v151
	v_or3_b32 v160, v160, v161, v151
.LBB0_252:                              ;   in Loop: Header=BB0_130 Depth=3
	s_or_b32 exec_lo, exec_lo, s9
	s_delay_alu instid0(VALU_DEP_1) | instskip(NEXT) | instid1(VALU_DEP_1)
	v_add_f32_e32 v151, v150, v160
	v_and_b32_e32 v150, 0x7f800000, v151
	s_delay_alu instid0(VALU_DEP_1)
	v_cmp_ne_u32_e32 vcc_lo, 0x7f800000, v150
	v_mov_b32_e32 v150, 0x80
	s_and_saveexec_b32 s9, vcc_lo
	s_cbranch_execz .LBB0_260
; %bb.253:                              ;   in Loop: Header=BB0_130 Depth=3
	v_mov_b32_e32 v150, 0
	s_mov_b32 s20, exec_lo
	v_cmpx_ne_u32_e32 0, v151
	s_cbranch_execz .LBB0_259
; %bb.254:                              ;   in Loop: Header=BB0_130 Depth=3
	v_bfe_u32 v150, v151, 23, 8
	s_delay_alu instid0(VALU_DEP_1) | instskip(SKIP_1) | instid1(VALU_DEP_2)
	v_sub_nc_u32_e32 v161, 0x78, v150
	v_cmp_gt_u32_e32 vcc_lo, 0x79, v150
	v_dual_cndmask_b32 v161, 0, v161 :: v_dual_and_b32 v160, 0x7fffff, v151
	s_delay_alu instid0(VALU_DEP_1) | instskip(SKIP_2) | instid1(VALU_DEP_4)
	v_or_b32_e32 v162, 0x800000, v160
	v_cmp_eq_u32_e32 vcc_lo, 0, v150
	v_add_nc_u32_e32 v150, 0xffffff89, v150
	v_cndmask_b32_e64 v161, v161, 0x77, vcc_lo
	s_delay_alu instid0(VALU_DEP_2) | instskip(SKIP_1) | instid1(VALU_DEP_3)
	v_cndmask_b32_e64 v150, v150, 0xffffff8a, vcc_lo
	v_cndmask_b32_e32 v160, v162, v160, vcc_lo
	v_lshl_add_u32 v162, 0x100000, v161, -1
	v_lshlrev_b32_e64 v165, v161, 0x80000
	s_delay_alu instid0(VALU_DEP_3) | instskip(SKIP_1) | instid1(VALU_DEP_4)
	v_lshrrev_b32_e32 v163, v161, v160
	v_add_nc_u32_e32 v161, v161, v150
	v_and_b32_e32 v160, v162, v160
	s_delay_alu instid0(VALU_DEP_3) | instskip(NEXT) | instid1(VALU_DEP_2)
	v_bfe_u32 v164, v163, 20, 1
	v_cmp_eq_u32_e64 s8, v160, v165
	s_delay_alu instid0(VALU_DEP_2) | instskip(NEXT) | instid1(VALU_DEP_1)
	v_add_nc_u32_e32 v162, -1, v164
	v_cndmask_b32_e64 v160, 0, v162, s8
	v_lshrrev_b32_e32 v162, 23, v163
	s_mov_b32 s8, exec_lo
	s_delay_alu instid0(VALU_DEP_2) | instskip(NEXT) | instid1(VALU_DEP_2)
	v_add_nc_u32_e32 v160, v160, v163
	v_xor_b32_e32 v162, 1, v162
	s_delay_alu instid0(VALU_DEP_2) | instskip(NEXT) | instid1(VALU_DEP_1)
	v_and_b32_e32 v150, 0xfffff, v160
	v_add_nc_u32_e32 v160, v150, v163
                                        ; implicit-def: $vgpr150
	s_delay_alu instid0(VALU_DEP_3)
	v_cmpx_ne_u32_e64 v161, v162
	s_xor_b32 s8, exec_lo, s8
; %bb.255:                              ;   in Loop: Header=BB0_130 Depth=3
	s_delay_alu instid0(VALU_DEP_2) | instskip(SKIP_2) | instid1(VALU_DEP_2)
	v_cmp_lt_u32_e32 vcc_lo, 0xffffff, v160
	v_sub_nc_u32_e32 v150, v161, v162
	v_cndmask_b32_e64 v161, 0, 1, vcc_lo
	v_add_co_ci_u32_e32 v150, vcc_lo, 0, v150, vcc_lo
	s_delay_alu instid0(VALU_DEP_2)
	v_lshrrev_b32_e32 v160, v161, v160
; %bb.256:                              ;   in Loop: Header=BB0_130 Depth=3
	s_and_not1_saveexec_b32 s8, s8
; %bb.257:                              ;   in Loop: Header=BB0_130 Depth=3
	s_delay_alu instid0(VALU_DEP_1)
	v_bfe_u32 v150, v160, 23, 1
; %bb.258:                              ;   in Loop: Header=BB0_130 Depth=3
	s_or_b32 exec_lo, exec_lo, s8
	v_lshrrev_b32_e32 v160, 20, v160
	s_delay_alu instid0(VALU_DEP_2) | instskip(SKIP_2) | instid1(VALU_DEP_2)
	v_cmp_gt_i32_e32 vcc_lo, 16, v150
	v_min_i32_e32 v161, 15, v150
	v_lshrrev_b32_e32 v151, 24, v151
	v_dual_cndmask_b32 v160, 7, v160 :: v_dual_lshlrev_b32 v161, 3, v161
	s_delay_alu instid0(VALU_DEP_2) | instskip(NEXT) | instid1(VALU_DEP_2)
	v_and_b32_e32 v151, 0x80, v151
	v_or_b32_e32 v150, v150, v160
	v_and_b32_e32 v162, 7, v160
	s_delay_alu instid0(VALU_DEP_2) | instskip(SKIP_1) | instid1(VALU_DEP_1)
	v_cmp_ne_u32_e32 vcc_lo, 0, v150
	v_and_b32_e32 v161, 0xf8, v161
	v_or3_b32 v151, v161, v151, v162
	s_delay_alu instid0(VALU_DEP_1)
	v_cndmask_b32_e32 v150, 0, v151, vcc_lo
.LBB0_259:                              ;   in Loop: Header=BB0_130 Depth=3
	s_or_b32 exec_lo, exec_lo, s20
.LBB0_260:                              ;   in Loop: Header=BB0_130 Depth=3
	s_delay_alu instid0(SALU_CYCLE_1) | instskip(SKIP_3) | instid1(VALU_DEP_1)
	s_or_b32 exec_lo, exec_lo, s9
	v_lshrrev_b32_e32 v160, 24, v22
	s_mov_b32 s8, 0
	s_mov_b32 s20, exec_lo
                                        ; implicit-def: $sgpr9
	v_cmpx_lt_i16_e64 0x7f, v160
	s_xor_b32 s20, exec_lo, s20
	s_cbranch_execnz .LBB0_330
; %bb.261:                              ;   in Loop: Header=BB0_130 Depth=3
	s_or_saveexec_b32 s20, s20
	v_mov_b32_e32 v151, s9
	s_xor_b32 exec_lo, exec_lo, s20
	s_cbranch_execnz .LBB0_333
.LBB0_262:                              ;   in Loop: Header=BB0_130 Depth=3
	s_or_b32 exec_lo, exec_lo, s20
	s_and_saveexec_b32 s9, s8
	s_cbranch_execz .LBB0_264
.LBB0_263:                              ;   in Loop: Header=BB0_130 Depth=3
	v_bfe_u32 v151, v22, 24, 3
	s_delay_alu instid0(VALU_DEP_1) | instskip(NEXT) | instid1(VALU_DEP_1)
	v_clz_i32_u32_e32 v161, v151
	v_min_u32_e32 v161, 32, v161
	s_delay_alu instid0(VALU_DEP_1) | instskip(SKIP_1) | instid1(VALU_DEP_2)
	v_subrev_nc_u32_e32 v162, 28, v161
	v_sub_nc_u32_e32 v161, 29, v161
	v_lshlrev_b32_e32 v160, v162, v160
	v_bfe_u32 v162, v22, 27, 4
	v_and_b32_e32 v22, 0x80000000, v22
	s_delay_alu instid0(VALU_DEP_2) | instskip(NEXT) | instid1(VALU_DEP_4)
	v_cmp_eq_u32_e32 vcc_lo, 0, v162
	v_dual_cndmask_b32 v161, v162, v161 :: v_dual_and_b32 v160, 7, v160
	s_delay_alu instid0(VALU_DEP_1) | instskip(NEXT) | instid1(VALU_DEP_2)
	v_cndmask_b32_e32 v151, v151, v160, vcc_lo
	v_lshl_add_u32 v160, v161, 23, 0x3b800000
	s_delay_alu instid0(VALU_DEP_2) | instskip(NEXT) | instid1(VALU_DEP_1)
	v_lshlrev_b32_e32 v151, 20, v151
	v_or3_b32 v151, v22, v160, v151
.LBB0_264:                              ;   in Loop: Header=BB0_130 Depth=3
	s_or_b32 exec_lo, exec_lo, s9
	v_lshrrev_b32_e32 v22, 24, v85
	s_mov_b32 s8, 0
	s_mov_b32 s20, exec_lo
                                        ; implicit-def: $sgpr9
	s_delay_alu instid0(VALU_DEP_1)
	v_cmpx_lt_i16_e32 0x7f, v22
	s_xor_b32 s20, exec_lo, s20
	s_cbranch_execnz .LBB0_334
; %bb.265:                              ;   in Loop: Header=BB0_130 Depth=3
	s_or_saveexec_b32 s20, s20
	v_mov_b32_e32 v160, s9
	s_xor_b32 exec_lo, exec_lo, s20
	s_cbranch_execnz .LBB0_337
.LBB0_266:                              ;   in Loop: Header=BB0_130 Depth=3
	s_or_b32 exec_lo, exec_lo, s20
	s_and_saveexec_b32 s9, s8
	s_cbranch_execz .LBB0_268
.LBB0_267:                              ;   in Loop: Header=BB0_130 Depth=3
	v_bfe_u32 v160, v85, 24, 3
	s_delay_alu instid0(VALU_DEP_1) | instskip(NEXT) | instid1(VALU_DEP_1)
	v_clz_i32_u32_e32 v161, v160
	v_min_u32_e32 v161, 32, v161
	s_delay_alu instid0(VALU_DEP_1) | instskip(SKIP_1) | instid1(VALU_DEP_2)
	v_subrev_nc_u32_e32 v162, 28, v161
	v_sub_nc_u32_e32 v161, 29, v161
	v_lshlrev_b32_e32 v22, v162, v22
	v_bfe_u32 v162, v85, 27, 4
	v_and_b32_e32 v85, 0x80000000, v85
	s_delay_alu instid0(VALU_DEP_2) | instskip(NEXT) | instid1(VALU_DEP_4)
	v_cmp_eq_u32_e32 vcc_lo, 0, v162
	v_dual_cndmask_b32 v161, v162, v161 :: v_dual_and_b32 v22, 7, v22
	s_delay_alu instid0(VALU_DEP_1) | instskip(NEXT) | instid1(VALU_DEP_2)
	v_cndmask_b32_e32 v22, v160, v22, vcc_lo
	v_lshl_add_u32 v160, v161, 23, 0x3b800000
	s_delay_alu instid0(VALU_DEP_2) | instskip(NEXT) | instid1(VALU_DEP_1)
	v_lshlrev_b32_e32 v22, 20, v22
	v_or3_b32 v160, v85, v160, v22
.LBB0_268:                              ;   in Loop: Header=BB0_130 Depth=3
	s_or_b32 exec_lo, exec_lo, s9
	s_delay_alu instid0(VALU_DEP_1) | instskip(NEXT) | instid1(VALU_DEP_1)
	v_add_f32_e32 v22, v151, v160
	v_and_b32_e32 v85, 0x7f800000, v22
	s_delay_alu instid0(VALU_DEP_1)
	v_cmp_ne_u32_e32 vcc_lo, 0x7f800000, v85
	v_mov_b32_e32 v85, 0x8000
	s_and_saveexec_b32 s9, vcc_lo
	s_cbranch_execz .LBB0_129
; %bb.269:                              ;   in Loop: Header=BB0_130 Depth=3
	v_mov_b32_e32 v85, 0
	s_mov_b32 s20, exec_lo
	v_cmpx_ne_u32_e32 0, v22
	s_cbranch_execz .LBB0_128
; %bb.270:                              ;   in Loop: Header=BB0_130 Depth=3
	v_bfe_u32 v85, v22, 23, 8
	s_delay_alu instid0(VALU_DEP_1) | instskip(SKIP_1) | instid1(VALU_DEP_2)
	v_sub_nc_u32_e32 v160, 0x78, v85
	v_cmp_gt_u32_e32 vcc_lo, 0x79, v85
	v_dual_cndmask_b32 v160, 0, v160 :: v_dual_and_b32 v151, 0x7fffff, v22
	s_delay_alu instid0(VALU_DEP_1) | instskip(SKIP_2) | instid1(VALU_DEP_4)
	v_or_b32_e32 v161, 0x800000, v151
	v_cmp_eq_u32_e32 vcc_lo, 0, v85
	v_add_nc_u32_e32 v85, 0xffffff89, v85
	v_cndmask_b32_e64 v160, v160, 0x77, vcc_lo
	s_delay_alu instid0(VALU_DEP_2) | instskip(SKIP_1) | instid1(VALU_DEP_3)
	v_cndmask_b32_e64 v85, v85, 0xffffff8a, vcc_lo
	v_cndmask_b32_e32 v151, v161, v151, vcc_lo
	v_lshl_add_u32 v161, 0x100000, v160, -1
	v_lshlrev_b32_e64 v164, v160, 0x80000
	s_delay_alu instid0(VALU_DEP_3) | instskip(SKIP_1) | instid1(VALU_DEP_4)
	v_lshrrev_b32_e32 v162, v160, v151
	v_add_nc_u32_e32 v160, v160, v85
	v_and_b32_e32 v151, v161, v151
	s_delay_alu instid0(VALU_DEP_3) | instskip(NEXT) | instid1(VALU_DEP_2)
	v_bfe_u32 v163, v162, 20, 1
	v_cmp_eq_u32_e64 s8, v151, v164
	s_delay_alu instid0(VALU_DEP_2) | instskip(NEXT) | instid1(VALU_DEP_1)
	v_add_nc_u32_e32 v161, -1, v163
	v_cndmask_b32_e64 v151, 0, v161, s8
	v_lshrrev_b32_e32 v161, 23, v162
	s_mov_b32 s8, exec_lo
	s_delay_alu instid0(VALU_DEP_2) | instskip(NEXT) | instid1(VALU_DEP_2)
	v_add_nc_u32_e32 v151, v151, v162
	v_xor_b32_e32 v161, 1, v161
	s_delay_alu instid0(VALU_DEP_2) | instskip(NEXT) | instid1(VALU_DEP_1)
	v_and_b32_e32 v85, 0xfffff, v151
	v_add_nc_u32_e32 v151, v85, v162
                                        ; implicit-def: $vgpr85
	s_delay_alu instid0(VALU_DEP_3)
	v_cmpx_ne_u32_e64 v160, v161
	s_xor_b32 s8, exec_lo, s8
; %bb.271:                              ;   in Loop: Header=BB0_130 Depth=3
	s_delay_alu instid0(VALU_DEP_2) | instskip(SKIP_2) | instid1(VALU_DEP_2)
	v_cmp_lt_u32_e32 vcc_lo, 0xffffff, v151
	v_sub_nc_u32_e32 v85, v160, v161
	v_cndmask_b32_e64 v160, 0, 1, vcc_lo
	v_add_co_ci_u32_e32 v85, vcc_lo, 0, v85, vcc_lo
	s_delay_alu instid0(VALU_DEP_2)
	v_lshrrev_b32_e32 v151, v160, v151
; %bb.272:                              ;   in Loop: Header=BB0_130 Depth=3
	s_and_not1_saveexec_b32 s8, s8
	s_cbranch_execz .LBB0_127
; %bb.273:                              ;   in Loop: Header=BB0_130 Depth=3
	s_delay_alu instid0(VALU_DEP_1)
	v_bfe_u32 v85, v151, 23, 1
	s_branch .LBB0_127
.LBB0_274:                              ;   in Loop: Header=BB0_130 Depth=3
	s_mov_b32 s8, -1
	s_mov_b32 s21, exec_lo
                                        ; implicit-def: $sgpr9
	v_cmpx_eq_u16_e32 0x80, v23
; %bb.275:                              ;   in Loop: Header=BB0_130 Depth=3
	s_mov_b32 s9, 0x7f800001
	s_xor_b32 s8, exec_lo, -1
; %bb.276:                              ;   in Loop: Header=BB0_130 Depth=3
	s_or_b32 exec_lo, exec_lo, s21
	s_delay_alu instid0(SALU_CYCLE_1)
	s_and_b32 s8, s8, exec_lo
                                        ; implicit-def: $vgpr23
	s_or_saveexec_b32 s20, s20
	v_mov_b32_e32 v21, s9
	s_xor_b32 exec_lo, exec_lo, s20
	s_cbranch_execz .LBB0_150
.LBB0_277:                              ;   in Loop: Header=BB0_130 Depth=3
	v_cmp_ne_u16_e32 vcc_lo, 0, v23
	v_mov_b32_e32 v21, 0
	s_and_not1_b32 s8, s8, exec_lo
	s_and_b32 s9, vcc_lo, exec_lo
	s_delay_alu instid0(SALU_CYCLE_1)
	s_or_b32 s8, s8, s9
	s_or_b32 exec_lo, exec_lo, s20
	s_and_saveexec_b32 s9, s8
	s_cbranch_execnz .LBB0_151
	s_branch .LBB0_152
.LBB0_278:                              ;   in Loop: Header=BB0_130 Depth=3
	s_mov_b32 s8, -1
	s_mov_b32 s21, exec_lo
                                        ; implicit-def: $sgpr9
	v_cmpx_eq_u16_e32 0x80, v23
; %bb.279:                              ;   in Loop: Header=BB0_130 Depth=3
	s_mov_b32 s9, 0x7f800001
	s_xor_b32 s8, exec_lo, -1
; %bb.280:                              ;   in Loop: Header=BB0_130 Depth=3
	s_or_b32 exec_lo, exec_lo, s21
	s_delay_alu instid0(SALU_CYCLE_1)
	s_and_b32 s8, s8, exec_lo
                                        ; implicit-def: $vgpr23
	s_or_saveexec_b32 s20, s20
	v_mov_b32_e32 v18, s9
	s_xor_b32 exec_lo, exec_lo, s20
	s_cbranch_execz .LBB0_154
.LBB0_281:                              ;   in Loop: Header=BB0_130 Depth=3
	v_cmp_ne_u16_e32 vcc_lo, 0, v23
	v_mov_b32_e32 v18, 0
	s_and_not1_b32 s8, s8, exec_lo
	s_and_b32 s9, vcc_lo, exec_lo
	s_delay_alu instid0(SALU_CYCLE_1)
	s_or_b32 s8, s8, s9
	s_or_b32 exec_lo, exec_lo, s20
	s_and_saveexec_b32 s9, s8
	s_cbranch_execnz .LBB0_155
	s_branch .LBB0_156
.LBB0_282:                              ;   in Loop: Header=BB0_130 Depth=3
	s_mov_b32 s8, -1
	s_mov_b32 s21, exec_lo
                                        ; implicit-def: $sgpr9
	v_cmpx_eq_u16_e32 0x80, v23
; %bb.283:                              ;   in Loop: Header=BB0_130 Depth=3
	s_mov_b32 s9, 0x7f800001
	s_xor_b32 s8, exec_lo, -1
; %bb.284:                              ;   in Loop: Header=BB0_130 Depth=3
	s_or_b32 exec_lo, exec_lo, s21
	s_delay_alu instid0(SALU_CYCLE_1)
	s_and_b32 s8, s8, exec_lo
	s_or_saveexec_b32 s20, s20
	v_mov_b32_e32 v21, s9
	s_xor_b32 exec_lo, exec_lo, s20
	s_cbranch_execz .LBB0_166
.LBB0_285:                              ;   in Loop: Header=BB0_130 Depth=3
	v_cmp_ne_u16_e32 vcc_lo, 0, v23
	v_mov_b32_e32 v21, 0
	s_and_not1_b32 s8, s8, exec_lo
	s_and_b32 s9, vcc_lo, exec_lo
	s_delay_alu instid0(SALU_CYCLE_1)
	s_or_b32 s8, s8, s9
	s_or_b32 exec_lo, exec_lo, s20
	s_and_saveexec_b32 s9, s8
	s_cbranch_execnz .LBB0_167
	s_branch .LBB0_168
.LBB0_286:                              ;   in Loop: Header=BB0_130 Depth=3
	s_mov_b32 s8, -1
	s_mov_b32 s21, exec_lo
                                        ; implicit-def: $sgpr9
	v_cmpx_eq_u16_e32 0x80, v23
; %bb.287:                              ;   in Loop: Header=BB0_130 Depth=3
	s_mov_b32 s9, 0x7f800001
	s_xor_b32 s8, exec_lo, -1
; %bb.288:                              ;   in Loop: Header=BB0_130 Depth=3
	s_or_b32 exec_lo, exec_lo, s21
	s_delay_alu instid0(SALU_CYCLE_1)
	s_and_b32 s8, s8, exec_lo
	s_or_saveexec_b32 s20, s20
	v_mov_b32_e32 v99, s9
	s_xor_b32 exec_lo, exec_lo, s20
	s_cbranch_execz .LBB0_170
.LBB0_289:                              ;   in Loop: Header=BB0_130 Depth=3
	v_cmp_ne_u16_e32 vcc_lo, 0, v23
	v_mov_b32_e32 v99, 0
	s_and_not1_b32 s8, s8, exec_lo
	s_and_b32 s9, vcc_lo, exec_lo
	s_delay_alu instid0(SALU_CYCLE_1)
	s_or_b32 s8, s8, s9
	s_or_b32 exec_lo, exec_lo, s20
	s_and_saveexec_b32 s9, s8
	s_cbranch_execnz .LBB0_171
	s_branch .LBB0_172
.LBB0_290:                              ;   in Loop: Header=BB0_130 Depth=3
	s_mov_b32 s8, -1
	s_mov_b32 s21, exec_lo
                                        ; implicit-def: $sgpr9
	v_cmpx_eq_u16_e64 0x80, v160
; %bb.291:                              ;   in Loop: Header=BB0_130 Depth=3
	s_mov_b32 s9, 0x7f800001
	s_xor_b32 s8, exec_lo, -1
; %bb.292:                              ;   in Loop: Header=BB0_130 Depth=3
	s_or_b32 exec_lo, exec_lo, s21
	s_delay_alu instid0(SALU_CYCLE_1)
	s_and_b32 s8, s8, exec_lo
                                        ; implicit-def: $vgpr160
	s_or_saveexec_b32 s20, s20
	v_mov_b32_e32 v23, s9
	s_xor_b32 exec_lo, exec_lo, s20
	s_cbranch_execz .LBB0_182
.LBB0_293:                              ;   in Loop: Header=BB0_130 Depth=3
	v_cmp_ne_u16_e64 vcc_lo, 0, v160
	v_mov_b32_e32 v23, 0
	s_and_not1_b32 s8, s8, exec_lo
	s_delay_alu instid0(VALU_DEP_2) | instskip(NEXT) | instid1(SALU_CYCLE_1)
	s_and_b32 s9, vcc_lo, exec_lo
	s_or_b32 s8, s8, s9
	s_or_b32 exec_lo, exec_lo, s20
	s_and_saveexec_b32 s9, s8
	s_cbranch_execnz .LBB0_183
	s_branch .LBB0_184
.LBB0_294:                              ;   in Loop: Header=BB0_130 Depth=3
	s_mov_b32 s8, -1
	s_mov_b32 s21, exec_lo
                                        ; implicit-def: $sgpr9
	v_cmpx_eq_u16_e64 0x80, v161
; %bb.295:                              ;   in Loop: Header=BB0_130 Depth=3
	s_mov_b32 s9, 0x7f800001
	s_xor_b32 s8, exec_lo, -1
; %bb.296:                              ;   in Loop: Header=BB0_130 Depth=3
	s_or_b32 exec_lo, exec_lo, s21
	s_delay_alu instid0(SALU_CYCLE_1)
	s_and_b32 s8, s8, exec_lo
                                        ; implicit-def: $vgpr161
	s_or_saveexec_b32 s20, s20
	v_mov_b32_e32 v160, s9
	s_xor_b32 exec_lo, exec_lo, s20
	s_cbranch_execz .LBB0_186
.LBB0_297:                              ;   in Loop: Header=BB0_130 Depth=3
	v_cmp_ne_u16_e64 vcc_lo, 0, v161
	v_mov_b32_e32 v160, 0
	s_and_not1_b32 s8, s8, exec_lo
	s_delay_alu instid0(VALU_DEP_2) | instskip(NEXT) | instid1(SALU_CYCLE_1)
	s_and_b32 s9, vcc_lo, exec_lo
	s_or_b32 s8, s8, s9
	s_or_b32 exec_lo, exec_lo, s20
	s_and_saveexec_b32 s9, s8
	s_cbranch_execnz .LBB0_187
	s_branch .LBB0_188
.LBB0_298:                              ;   in Loop: Header=BB0_130 Depth=3
	s_mov_b32 s8, -1
	s_mov_b32 s21, exec_lo
                                        ; implicit-def: $sgpr9
	v_cmpx_eq_u16_e64 0x80, v160
; %bb.299:                              ;   in Loop: Header=BB0_130 Depth=3
	s_mov_b32 s9, 0x7f800001
	s_xor_b32 s8, exec_lo, -1
; %bb.300:                              ;   in Loop: Header=BB0_130 Depth=3
	s_or_b32 exec_lo, exec_lo, s21
	s_delay_alu instid0(SALU_CYCLE_1)
	s_and_b32 s8, s8, exec_lo
	s_or_saveexec_b32 s20, s20
	v_mov_b32_e32 v99, s9
	s_xor_b32 exec_lo, exec_lo, s20
	s_cbranch_execz .LBB0_198
.LBB0_301:                              ;   in Loop: Header=BB0_130 Depth=3
	v_cmp_ne_u16_e64 vcc_lo, 0, v160
	v_mov_b32_e32 v99, 0
	s_and_not1_b32 s8, s8, exec_lo
	s_delay_alu instid0(VALU_DEP_2) | instskip(NEXT) | instid1(SALU_CYCLE_1)
	s_and_b32 s9, vcc_lo, exec_lo
	s_or_b32 s8, s8, s9
	s_or_b32 exec_lo, exec_lo, s20
	s_and_saveexec_b32 s9, s8
	s_cbranch_execnz .LBB0_199
	s_branch .LBB0_200
.LBB0_302:                              ;   in Loop: Header=BB0_130 Depth=3
	s_mov_b32 s8, -1
	s_mov_b32 s21, exec_lo
                                        ; implicit-def: $sgpr9
	v_cmpx_eq_u16_e32 0x80, v20
; %bb.303:                              ;   in Loop: Header=BB0_130 Depth=3
	s_mov_b32 s9, 0x7f800001
	s_xor_b32 s8, exec_lo, -1
; %bb.304:                              ;   in Loop: Header=BB0_130 Depth=3
	s_or_b32 exec_lo, exec_lo, s21
	s_delay_alu instid0(SALU_CYCLE_1)
	s_and_b32 s8, s8, exec_lo
	s_or_saveexec_b32 s20, s20
	v_mov_b32_e32 v160, s9
	s_xor_b32 exec_lo, exec_lo, s20
	s_cbranch_execz .LBB0_202
.LBB0_305:                              ;   in Loop: Header=BB0_130 Depth=3
	v_cmp_ne_u16_e32 vcc_lo, 0, v20
	v_mov_b32_e32 v160, 0
	s_and_not1_b32 s8, s8, exec_lo
	s_and_b32 s9, vcc_lo, exec_lo
	s_delay_alu instid0(SALU_CYCLE_1)
	s_or_b32 s8, s8, s9
	s_or_b32 exec_lo, exec_lo, s20
	s_and_saveexec_b32 s9, s8
	s_cbranch_execnz .LBB0_203
	s_branch .LBB0_204
.LBB0_306:                              ;   in Loop: Header=BB0_130 Depth=3
	s_mov_b32 s8, -1
	s_mov_b32 s21, exec_lo
                                        ; implicit-def: $sgpr9
	v_cmpx_eq_u16_e32 0x80, v99
; %bb.307:                              ;   in Loop: Header=BB0_130 Depth=3
	s_mov_b32 s9, 0x7f800001
	s_xor_b32 s8, exec_lo, -1
; %bb.308:                              ;   in Loop: Header=BB0_130 Depth=3
	s_or_b32 exec_lo, exec_lo, s21
	s_delay_alu instid0(SALU_CYCLE_1)
	s_and_b32 s8, s8, exec_lo
                                        ; implicit-def: $vgpr99
	s_or_saveexec_b32 s20, s20
	v_mov_b32_e32 v98, s9
	s_xor_b32 exec_lo, exec_lo, s20
	s_cbranch_execz .LBB0_214
.LBB0_309:                              ;   in Loop: Header=BB0_130 Depth=3
	v_cmp_ne_u16_e32 vcc_lo, 0, v99
	v_mov_b32_e32 v98, 0
	s_and_not1_b32 s8, s8, exec_lo
	s_and_b32 s9, vcc_lo, exec_lo
	s_delay_alu instid0(SALU_CYCLE_1)
	s_or_b32 s8, s8, s9
	s_or_b32 exec_lo, exec_lo, s20
	s_and_saveexec_b32 s9, s8
	s_cbranch_execnz .LBB0_215
	s_branch .LBB0_216
.LBB0_310:                              ;   in Loop: Header=BB0_130 Depth=3
	s_mov_b32 s8, -1
	s_mov_b32 s21, exec_lo
                                        ; implicit-def: $sgpr9
	v_cmpx_eq_u16_e64 0x80, v151
; %bb.311:                              ;   in Loop: Header=BB0_130 Depth=3
	s_mov_b32 s9, 0x7f800001
	s_xor_b32 s8, exec_lo, -1
; %bb.312:                              ;   in Loop: Header=BB0_130 Depth=3
	s_or_b32 exec_lo, exec_lo, s21
	s_delay_alu instid0(SALU_CYCLE_1)
	s_and_b32 s8, s8, exec_lo
                                        ; implicit-def: $vgpr151
	s_or_saveexec_b32 s20, s20
	v_mov_b32_e32 v150, s9
	s_xor_b32 exec_lo, exec_lo, s20
	s_cbranch_execz .LBB0_218
.LBB0_313:                              ;   in Loop: Header=BB0_130 Depth=3
	v_cmp_ne_u16_e64 vcc_lo, 0, v151
	v_mov_b32_e32 v150, 0
	s_and_not1_b32 s8, s8, exec_lo
	s_delay_alu instid0(VALU_DEP_2) | instskip(NEXT) | instid1(SALU_CYCLE_1)
	s_and_b32 s9, vcc_lo, exec_lo
	s_or_b32 s8, s8, s9
	s_or_b32 exec_lo, exec_lo, s20
	s_and_saveexec_b32 s9, s8
	s_cbranch_execnz .LBB0_219
	s_branch .LBB0_220
.LBB0_314:                              ;   in Loop: Header=BB0_130 Depth=3
	s_mov_b32 s8, -1
	s_mov_b32 s21, exec_lo
                                        ; implicit-def: $sgpr9
	v_cmpx_eq_u16_e64 0x80, v150
; %bb.315:                              ;   in Loop: Header=BB0_130 Depth=3
	s_mov_b32 s9, 0x7f800001
	s_xor_b32 s8, exec_lo, -1
; %bb.316:                              ;   in Loop: Header=BB0_130 Depth=3
	s_or_b32 exec_lo, exec_lo, s21
	s_delay_alu instid0(SALU_CYCLE_1)
	s_and_b32 s8, s8, exec_lo
	s_or_saveexec_b32 s20, s20
	v_mov_b32_e32 v99, s9
	s_xor_b32 exec_lo, exec_lo, s20
	s_cbranch_execz .LBB0_230
.LBB0_317:                              ;   in Loop: Header=BB0_130 Depth=3
	v_cmp_ne_u16_e64 vcc_lo, 0, v150
	v_mov_b32_e32 v99, 0
	s_and_not1_b32 s8, s8, exec_lo
	s_delay_alu instid0(VALU_DEP_2) | instskip(NEXT) | instid1(SALU_CYCLE_1)
	s_and_b32 s9, vcc_lo, exec_lo
	s_or_b32 s8, s8, s9
	s_or_b32 exec_lo, exec_lo, s20
	s_and_saveexec_b32 s9, s8
	s_cbranch_execnz .LBB0_231
	s_branch .LBB0_232
.LBB0_318:                              ;   in Loop: Header=BB0_130 Depth=3
	s_mov_b32 s8, -1
	s_mov_b32 s21, exec_lo
                                        ; implicit-def: $sgpr9
	v_cmpx_eq_u16_e64 0x80, v150
; %bb.319:                              ;   in Loop: Header=BB0_130 Depth=3
	s_mov_b32 s9, 0x7f800001
	s_xor_b32 s8, exec_lo, -1
; %bb.320:                              ;   in Loop: Header=BB0_130 Depth=3
	s_or_b32 exec_lo, exec_lo, s21
	s_delay_alu instid0(SALU_CYCLE_1)
	s_and_b32 s8, s8, exec_lo
	s_or_saveexec_b32 s20, s20
	v_mov_b32_e32 v151, s9
	s_xor_b32 exec_lo, exec_lo, s20
	s_cbranch_execz .LBB0_234
.LBB0_321:                              ;   in Loop: Header=BB0_130 Depth=3
	v_cmp_ne_u16_e64 vcc_lo, 0, v150
	v_mov_b32_e32 v151, 0
	s_and_not1_b32 s8, s8, exec_lo
	s_delay_alu instid0(VALU_DEP_2) | instskip(NEXT) | instid1(SALU_CYCLE_1)
	s_and_b32 s9, vcc_lo, exec_lo
	s_or_b32 s8, s8, s9
	s_or_b32 exec_lo, exec_lo, s20
	s_and_saveexec_b32 s9, s8
	s_cbranch_execnz .LBB0_235
	s_branch .LBB0_236
.LBB0_322:                              ;   in Loop: Header=BB0_130 Depth=3
	s_mov_b32 s8, -1
	s_mov_b32 s21, exec_lo
                                        ; implicit-def: $sgpr9
	v_cmpx_eq_u16_e64 0x80, v160
; %bb.323:                              ;   in Loop: Header=BB0_130 Depth=3
	s_mov_b32 s9, 0x7f800001
	s_xor_b32 s8, exec_lo, -1
; %bb.324:                              ;   in Loop: Header=BB0_130 Depth=3
	s_or_b32 exec_lo, exec_lo, s21
	s_delay_alu instid0(SALU_CYCLE_1)
	s_and_b32 s8, s8, exec_lo
                                        ; implicit-def: $vgpr160
	s_or_saveexec_b32 s20, s20
	v_mov_b32_e32 v150, s9
	s_xor_b32 exec_lo, exec_lo, s20
	s_cbranch_execz .LBB0_246
.LBB0_325:                              ;   in Loop: Header=BB0_130 Depth=3
	v_cmp_ne_u16_e64 vcc_lo, 0, v160
	v_mov_b32_e32 v150, 0
	s_and_not1_b32 s8, s8, exec_lo
	s_delay_alu instid0(VALU_DEP_2) | instskip(NEXT) | instid1(SALU_CYCLE_1)
	s_and_b32 s9, vcc_lo, exec_lo
	s_or_b32 s8, s8, s9
	s_or_b32 exec_lo, exec_lo, s20
	s_and_saveexec_b32 s9, s8
	s_cbranch_execnz .LBB0_247
	s_branch .LBB0_248
.LBB0_326:                              ;   in Loop: Header=BB0_130 Depth=3
	s_mov_b32 s8, -1
	s_mov_b32 s21, exec_lo
                                        ; implicit-def: $sgpr9
	v_cmpx_eq_u16_e64 0x80, v161
; %bb.327:                              ;   in Loop: Header=BB0_130 Depth=3
	s_mov_b32 s9, 0x7f800001
	s_xor_b32 s8, exec_lo, -1
; %bb.328:                              ;   in Loop: Header=BB0_130 Depth=3
	s_or_b32 exec_lo, exec_lo, s21
	s_delay_alu instid0(SALU_CYCLE_1)
	s_and_b32 s8, s8, exec_lo
                                        ; implicit-def: $vgpr161
	s_or_saveexec_b32 s20, s20
	v_mov_b32_e32 v160, s9
	s_xor_b32 exec_lo, exec_lo, s20
	s_cbranch_execz .LBB0_250
.LBB0_329:                              ;   in Loop: Header=BB0_130 Depth=3
	v_cmp_ne_u16_e64 vcc_lo, 0, v161
	v_mov_b32_e32 v160, 0
	s_and_not1_b32 s8, s8, exec_lo
	s_delay_alu instid0(VALU_DEP_2) | instskip(NEXT) | instid1(SALU_CYCLE_1)
	s_and_b32 s9, vcc_lo, exec_lo
	s_or_b32 s8, s8, s9
	s_or_b32 exec_lo, exec_lo, s20
	s_and_saveexec_b32 s9, s8
	s_cbranch_execnz .LBB0_251
	s_branch .LBB0_252
.LBB0_330:                              ;   in Loop: Header=BB0_130 Depth=3
	s_mov_b32 s8, -1
	s_mov_b32 s21, exec_lo
                                        ; implicit-def: $sgpr9
	v_cmpx_eq_u16_e64 0x80, v160
; %bb.331:                              ;   in Loop: Header=BB0_130 Depth=3
	s_mov_b32 s9, 0x7f800001
	s_xor_b32 s8, exec_lo, -1
; %bb.332:                              ;   in Loop: Header=BB0_130 Depth=3
	s_or_b32 exec_lo, exec_lo, s21
	s_delay_alu instid0(SALU_CYCLE_1)
	s_and_b32 s8, s8, exec_lo
	s_or_saveexec_b32 s20, s20
	v_mov_b32_e32 v151, s9
	s_xor_b32 exec_lo, exec_lo, s20
	s_cbranch_execz .LBB0_262
.LBB0_333:                              ;   in Loop: Header=BB0_130 Depth=3
	v_cmp_ne_u16_e64 vcc_lo, 0, v160
	v_mov_b32_e32 v151, 0
	s_and_not1_b32 s8, s8, exec_lo
	s_delay_alu instid0(VALU_DEP_2) | instskip(NEXT) | instid1(SALU_CYCLE_1)
	s_and_b32 s9, vcc_lo, exec_lo
	s_or_b32 s8, s8, s9
	s_or_b32 exec_lo, exec_lo, s20
	s_and_saveexec_b32 s9, s8
	s_cbranch_execnz .LBB0_263
	s_branch .LBB0_264
.LBB0_334:                              ;   in Loop: Header=BB0_130 Depth=3
	s_mov_b32 s8, -1
	s_mov_b32 s21, exec_lo
                                        ; implicit-def: $sgpr9
	v_cmpx_eq_u16_e32 0x80, v22
; %bb.335:                              ;   in Loop: Header=BB0_130 Depth=3
	s_mov_b32 s9, 0x7f800001
	s_xor_b32 s8, exec_lo, -1
; %bb.336:                              ;   in Loop: Header=BB0_130 Depth=3
	s_or_b32 exec_lo, exec_lo, s21
	s_delay_alu instid0(SALU_CYCLE_1)
	s_and_b32 s8, s8, exec_lo
	s_or_saveexec_b32 s20, s20
	v_mov_b32_e32 v160, s9
	s_xor_b32 exec_lo, exec_lo, s20
	s_cbranch_execz .LBB0_266
.LBB0_337:                              ;   in Loop: Header=BB0_130 Depth=3
	v_cmp_ne_u16_e32 vcc_lo, 0, v22
	v_mov_b32_e32 v160, 0
	s_and_not1_b32 s8, s8, exec_lo
	s_and_b32 s9, vcc_lo, exec_lo
	s_delay_alu instid0(SALU_CYCLE_1)
	s_or_b32 s8, s8, s9
	s_or_b32 exec_lo, exec_lo, s20
	s_and_saveexec_b32 s9, s8
	s_cbranch_execnz .LBB0_267
	s_branch .LBB0_268
.LBB0_338:                              ;   in Loop: Header=BB0_85 Depth=2
	s_or_b32 exec_lo, exec_lo, s19
.LBB0_339:                              ;   in Loop: Header=BB0_85 Depth=2
	s_delay_alu instid0(SALU_CYCLE_1)
	s_or_b32 exec_lo, exec_lo, s18
	s_and_saveexec_b32 s8, s3
	s_cbranch_execz .LBB0_361
; %bb.340:                              ;   in Loop: Header=BB0_85 Depth=2
	s_and_saveexec_b32 s9, s4
	s_delay_alu instid0(SALU_CYCLE_1)
	s_xor_b32 s9, exec_lo, s9
	s_cbranch_execz .LBB0_358
; %bb.341:                              ;   in Loop: Header=BB0_85 Depth=2
	s_and_saveexec_b32 s18, s5
	s_cbranch_execz .LBB0_357
; %bb.342:                              ;   in Loop: Header=BB0_85 Depth=2
	s_mov_b32 s20, exec_lo
	s_mov_b32 s19, exec_lo
	v_mbcnt_lo_u32_b32 v18, s20, 0
	s_waitcnt vmcnt(0) lgkmcnt(0)
	s_waitcnt_vscnt null, 0x0
	buffer_gl1_inv
	buffer_gl0_inv
	v_cmpx_eq_u32_e32 0, v18
	s_cbranch_execz .LBB0_344
; %bb.343:                              ;   in Loop: Header=BB0_85 Depth=2
	s_bcnt1_i32_b32 s20, s20
	s_delay_alu instid0(SALU_CYCLE_1)
	v_mov_b32_e32 v64, s20
	ds_add_u64 v0, v[64:65]
	s_cbranch_execnz .LBB0_682
.LBB0_344:                              ;   in Loop: Header=BB0_85 Depth=2
	s_or_b32 exec_lo, exec_lo, s19
	s_cbranch_execnz .LBB0_674
; %bb.345:                              ;   in Loop: Header=BB0_85 Depth=2
	ds_load_b64 v[18:19], v0
	v_add_co_u32 v2, vcc_lo, v2, v101
	v_add_co_ci_u32_e32 v3, vcc_lo, v3, v112, vcc_lo
	s_mov_b32 s19, exec_lo
	s_waitcnt lgkmcnt(0)
	s_delay_alu instid0(VALU_DEP_1)
	v_cmpx_lt_u64_e64 v[18:19], v[2:3]
	s_cbranch_execz .LBB0_356
; %bb.346:                              ;   in Loop: Header=BB0_85 Depth=2
	s_mov_b32 s20, 0
	s_mov_b32 s23, 0
                                        ; implicit-def: $sgpr21
                                        ; implicit-def: $sgpr22
	s_branch .LBB0_348
.LBB0_347:                              ;   in Loop: Header=BB0_348 Depth=3
	s_or_b32 exec_lo, exec_lo, s26
	s_delay_alu instid0(SALU_CYCLE_1) | instskip(NEXT) | instid1(SALU_CYCLE_1)
	s_and_b32 s24, exec_lo, s25
	s_or_b32 s20, s24, s20
	s_and_not1_b32 s21, s21, exec_lo
	s_and_b32 s24, s22, exec_lo
	s_delay_alu instid0(SALU_CYCLE_1)
	s_or_b32 s21, s21, s24
	s_and_not1_b32 exec_lo, exec_lo, s20
	s_cbranch_execz .LBB0_354
.LBB0_348:                              ;   Parent Loop BB0_32 Depth=1
                                        ;     Parent Loop BB0_85 Depth=2
                                        ; =>    This Inner Loop Header: Depth=3
	s_add_i32 s23, s23, 1
                                        ; implicit-def: $sgpr25
	s_delay_alu instid0(SALU_CYCLE_1) | instskip(SKIP_1) | instid1(SALU_CYCLE_1)
	s_cmpk_lg_i32 s23, 0x2710
	s_cselect_b32 s24, -1, 0
	s_and_b32 vcc_lo, exec_lo, s24
	s_cbranch_vccz .LBB0_352
.LBB0_349:                              ;   in Loop: Header=BB0_348 Depth=3
	s_and_not1_b32 s22, s22, exec_lo
	s_and_b32 s26, s25, exec_lo
	s_mov_b32 s25, -1
	s_or_b32 s22, s22, s26
	s_and_saveexec_b32 s26, s24
	s_cbranch_execz .LBB0_347
; %bb.350:                              ;   in Loop: Header=BB0_348 Depth=3
	s_sleep 1
	s_cbranch_execnz .LBB0_694
; %bb.351:                              ;   in Loop: Header=BB0_348 Depth=3
	ds_load_b64 v[18:19], v0
	s_and_not1_b32 s22, s22, exec_lo
	s_waitcnt lgkmcnt(0)
	v_cmp_ge_u64_e32 vcc_lo, v[18:19], v[2:3]
	s_or_not1_b32 s25, vcc_lo, exec_lo
	s_branch .LBB0_347
.LBB0_352:                              ;   in Loop: Header=BB0_348 Depth=3
	s_cbranch_execnz .LBB0_696
; %bb.353:                              ;   in Loop: Header=BB0_348 Depth=3
	ds_load_b64 v[18:19], v0
	s_and_not1_b32 s24, s24, exec_lo
	s_mov_b32 s23, 0
	s_mov_b32 s25, -1
	s_waitcnt lgkmcnt(0)
	flat_load_b32 v18, v[18:19] glc
	s_waitcnt vmcnt(0) lgkmcnt(0)
	buffer_gl1_inv
	buffer_gl0_inv
	v_cmp_eq_u32_e32 vcc_lo, 0, v18
	s_and_b32 s26, vcc_lo, exec_lo
	s_delay_alu instid0(SALU_CYCLE_1)
	s_or_b32 s24, s24, s26
	s_branch .LBB0_349
.LBB0_354:                              ;   in Loop: Header=BB0_85 Depth=2
	s_or_b32 exec_lo, exec_lo, s20
	s_and_saveexec_b32 s20, s21
	s_delay_alu instid0(SALU_CYCLE_1)
	s_xor_b32 s20, exec_lo, s20
	s_cbranch_execz .LBB0_356
; %bb.355:                              ;   in Loop: Header=BB0_85 Depth=2
	ds_store_b32 v0, v129
	s_cbranch_execnz .LBB0_715
.LBB0_356:                              ;   in Loop: Header=BB0_85 Depth=2
	s_or_b32 exec_lo, exec_lo, s19
	;;#ASMSTART
	s_wakeup
	;;#ASMEND
.LBB0_357:                              ;   in Loop: Header=BB0_85 Depth=2
	s_or_b32 exec_lo, exec_lo, s18
.LBB0_358:                              ;   in Loop: Header=BB0_85 Depth=2
	s_and_not1_saveexec_b32 s9, s9
	s_cbranch_execz .LBB0_360
; %bb.359:                              ;   in Loop: Header=BB0_85 Depth=2
	s_waitcnt vmcnt(0) lgkmcnt(0)
	s_waitcnt_vscnt null, 0x0
	buffer_gl1_inv
	buffer_gl0_inv
	s_barrier
.LBB0_360:                              ;   in Loop: Header=BB0_85 Depth=2
	s_or_b32 exec_lo, exec_lo, s9
.LBB0_361:                              ;   in Loop: Header=BB0_85 Depth=2
	s_delay_alu instid0(SALU_CYCLE_1)
	s_or_b32 exec_lo, exec_lo, s8
	s_and_saveexec_b32 s8, s6
	s_cbranch_execz .LBB0_363
; %bb.362:                              ;   in Loop: Header=BB0_85 Depth=2
	v_add_co_u32 v50, vcc_lo, v50, 1
	v_add_co_ci_u32_e32 v51, vcc_lo, 0, v51, vcc_lo
	s_waitcnt vmcnt(0) lgkmcnt(0)
	s_waitcnt_vscnt null, 0x0
	flat_store_b64 v[38:39], v[50:51]
.LBB0_363:                              ;   in Loop: Header=BB0_85 Depth=2
	s_or_b32 exec_lo, exec_lo, s8
	v_and_b32_e32 v64, 0x7ffffff8, v80
	v_cmp_gt_i32_e64 s8, s14, v84
	s_delay_alu instid0(VALU_DEP_2) | instskip(NEXT) | instid1(VALU_DEP_2)
	v_cmp_eq_u64_e32 vcc_lo, 0x7ffffff8, v[64:65]
	s_and_b32 s8, vcc_lo, s8
	s_delay_alu instid0(SALU_CYCLE_1)
	s_and_saveexec_b32 s9, s8
	s_cbranch_execz .LBB0_366
; %bb.364:                              ;   in Loop: Header=BB0_85 Depth=2
	v_and_b32_e32 v18, 7, v135
	v_ashrrev_i32_e32 v85, 31, v84
	v_mov_b32_e32 v22, v80
	s_mov_b32 s18, 0
	s_delay_alu instid0(VALU_DEP_3) | instskip(SKIP_2) | instid1(VALU_DEP_2)
	v_mul_lo_u32 v18, s14, v18
	s_waitcnt vmcnt(0) lgkmcnt(0)
	v_lshlrev_b64 v[20:21], 4, v[84:85]
	v_ashrrev_i32_e32 v19, 31, v18
	s_delay_alu instid0(VALU_DEP_1) | instskip(NEXT) | instid1(VALU_DEP_1)
	v_lshlrev_b64 v[18:19], 4, v[18:19]
	v_add_co_u32 v20, vcc_lo, v20, v18
	s_delay_alu instid0(VALU_DEP_2) | instskip(SKIP_2) | instid1(VALU_DEP_4)
	v_add_co_ci_u32_e32 v21, vcc_lo, v21, v19, vcc_lo
	v_add_co_u32 v18, vcc_lo, 0, 0
	v_add_co_ci_u32_e32 v19, vcc_lo, 1, v22, vcc_lo
	v_add_co_u32 v22, vcc_lo, v48, v20
	s_delay_alu instid0(VALU_DEP_4)
	v_add_co_ci_u32_e32 v23, vcc_lo, v49, v21, vcc_lo
.LBB0_365:                              ;   Parent Loop BB0_32 Depth=1
                                        ;     Parent Loop BB0_85 Depth=2
                                        ; =>    This Inner Loop Header: Depth=3
	s_delay_alu instid0(VALU_DEP_3) | instskip(SKIP_4) | instid1(VALU_DEP_1)
	v_dual_mov_b32 v20, v18 :: v_dual_mov_b32 v21, v19
	v_add_nc_u32_e32 v84, v84, v1
	global_store_b128 v[22:23], v[18:21], off
	v_cmp_le_i32_e32 vcc_lo, s14, v84
	v_add_co_u32 v22, s8, v22, v70
	v_add_co_ci_u32_e64 v23, s8, v23, v71, s8
	s_or_b32 s18, vcc_lo, s18
	s_delay_alu instid0(SALU_CYCLE_1)
	s_and_not1_b32 exec_lo, exec_lo, s18
	s_cbranch_execnz .LBB0_365
.LBB0_366:                              ;   in Loop: Header=BB0_85 Depth=2
	s_or_b32 exec_lo, exec_lo, s9
	v_add_co_u32 v34, vcc_lo, v34, 1
	v_add_co_ci_u32_e32 v35, vcc_lo, 0, v35, vcc_lo
	v_add_co_u32 v80, vcc_lo, v80, 1
	v_add_co_ci_u32_e32 v81, vcc_lo, 0, v81, vcc_lo
	v_add_nc_u16 v135, v135, 1
	s_add_i32 s17, s17, 1
	s_delay_alu instid0(SALU_CYCLE_1)
	s_cmp_eq_u32 s17, s10
	s_cbranch_scc0 .LBB0_85
.LBB0_367:                              ;   in Loop: Header=BB0_32 Depth=1
	s_delay_alu instid0(VALU_DEP_1)
	v_dual_mov_b32 v22, v80 :: v_dual_mov_b32 v23, v81
	s_and_saveexec_b32 s9, s7
	s_cbranch_execz .LBB0_599
; %bb.368:                              ;   in Loop: Header=BB0_32 Depth=1
	flat_load_b32 v64, v[24:25]
	v_and_b32_e32 v18, 7, v34
	s_waitcnt vmcnt(1) lgkmcnt(1)
	v_add_co_u32 v20, vcc_lo, v12, v133
	v_add_co_ci_u32_e32 v21, vcc_lo, v13, v134, vcc_lo
	s_delay_alu instid0(VALU_DEP_3) | instskip(SKIP_1) | instid1(VALU_DEP_1)
	v_mul_lo_u32 v18, v18, s14
	s_mov_b32 s17, 0
	v_ashrrev_i32_e32 v19, 31, v18
	s_delay_alu instid0(VALU_DEP_1)
	v_lshlrev_b64 v[18:19], 4, v[18:19]
	s_waitcnt vmcnt(0) lgkmcnt(0)
	v_ashrrev_i32_e32 v80, 31, v64
	v_mul_lo_u32 v84, v100, v64
	v_mad_u64_u32 v[82:83], null, v30, v64, v[20:21]
	v_add_nc_u32_e32 v64, 1, v34
	s_delay_alu instid0(VALU_DEP_4)
	v_mul_lo_u32 v20, v30, v80
	v_add_co_u32 v80, vcc_lo, v117, v133
	v_add_co_ci_u32_e32 v81, vcc_lo, v118, v134, vcc_lo
	v_add_co_u32 v85, vcc_lo, v32, v18
	v_add_co_ci_u32_e32 v86, vcc_lo, v33, v19, vcc_lo
	v_add3_u32 v20, v84, v83, v20
	v_add_co_u32 v87, vcc_lo, v82, v102
	v_mov_b32_e32 v82, v4
	s_delay_alu instid0(VALU_DEP_3)
	v_add_co_ci_u32_e32 v96, vcc_lo, v20, v113, vcc_lo
	s_branch .LBB0_370
.LBB0_369:                              ;   in Loop: Header=BB0_370 Depth=2
	v_sub_nc_u32_e32 v131, v131, v103
	v_add_co_u32 v87, vcc_lo, v87, v103
	v_add_co_ci_u32_e32 v96, vcc_lo, v96, v114, vcc_lo
	s_delay_alu instid0(VALU_DEP_3) | instskip(SKIP_1) | instid1(VALU_DEP_1)
	v_cmp_gt_i32_e32 vcc_lo, 1, v131
	v_add_co_u32 v80, s7, v80, v103
	v_add_co_ci_u32_e64 v81, s7, v81, v114, s7
	v_add_nc_u32_e32 v82, v82, v1
	s_or_b32 s17, vcc_lo, s17
	s_delay_alu instid0(SALU_CYCLE_1)
	s_and_not1_b32 exec_lo, exec_lo, s17
	s_cbranch_execz .LBB0_598
.LBB0_370:                              ;   Parent Loop BB0_32 Depth=1
                                        ; =>  This Loop Header: Depth=2
                                        ;       Child Loop BB0_378 Depth 3
	s_delay_alu instid0(VALU_DEP_1)
	v_dual_mov_b32 v19, v96 :: v_dual_and_b32 v18, -4, v87
	v_min_u32_e32 v20, 8, v131
	v_dual_mov_b32 v98, 0 :: v_dual_and_b32 v21, 3, v87
	v_mov_b32_e32 v97, 0
	flat_load_b32 v99, v[18:19] glc
	v_add_co_u32 v20, s7, v21, v20
	s_delay_alu instid0(VALU_DEP_1) | instskip(SKIP_1) | instid1(VALU_DEP_1)
	v_add_co_ci_u32_e64 v21, null, 0, 0, s7
	s_mov_b32 s7, exec_lo
	v_cmpx_lt_u64_e32 4, v[20:21]
	s_cbranch_execz .LBB0_372
; %bb.371:                              ;   in Loop: Header=BB0_370 Depth=2
	flat_load_b32 v98, v[18:19] offset:4 glc
.LBB0_372:                              ;   in Loop: Header=BB0_370 Depth=2
	s_or_b32 exec_lo, exec_lo, s7
	s_delay_alu instid0(SALU_CYCLE_1)
	s_mov_b32 s7, exec_lo
	v_cmpx_lt_u64_e32 8, v[20:21]
	s_cbranch_execz .LBB0_374
; %bb.373:                              ;   in Loop: Header=BB0_370 Depth=2
	flat_load_b32 v97, v[18:19] offset:8 glc
.LBB0_374:                              ;   in Loop: Header=BB0_370 Depth=2
	s_or_b32 exec_lo, exec_lo, s7
	v_ashrrev_i32_e32 v83, 31, v82
	s_delay_alu instid0(VALU_DEP_1) | instskip(NEXT) | instid1(VALU_DEP_1)
	v_lshlrev_b64 v[18:19], 4, v[82:83]
	v_add_co_u32 v83, vcc_lo, v85, v18
	s_delay_alu instid0(VALU_DEP_2)
	v_add_co_ci_u32_e32 v84, vcc_lo, v86, v19, vcc_lo
	v_cmp_eq_u32_e32 vcc_lo, 0, v130
	;;#ASMSTART
	global_load_b128 v[18:21], v[83:84], off glc slc dlc
s_waitcnt vmcnt(0)

	;;#ASMEND
	s_and_saveexec_b32 s18, vcc_lo
	s_cbranch_execz .LBB0_388
; %bb.375:                              ;   in Loop: Header=BB0_370 Depth=2
	v_cmp_ne_u32_e64 s7, v64, v19
	v_cmp_ne_u32_e64 s8, v64, v21
	v_mov_b32_e32 v130, 0
	s_delay_alu instid0(VALU_DEP_2) | instskip(NEXT) | instid1(SALU_CYCLE_1)
	s_or_b32 s7, s7, s8
	s_and_saveexec_b32 s8, s7
	s_cbranch_execz .LBB0_387
; %bb.376:                              ;   in Loop: Header=BB0_370 Depth=2
	v_cndmask_b32_e64 v132, 0, 1, vcc_lo
	s_mov_b32 s19, 0
                                        ; implicit-def: $sgpr20
                                        ; implicit-def: $sgpr21
	s_branch .LBB0_378
.LBB0_377:                              ;   in Loop: Header=BB0_378 Depth=3
	s_or_b32 exec_lo, exec_lo, s22
	s_delay_alu instid0(SALU_CYCLE_1) | instskip(NEXT) | instid1(SALU_CYCLE_1)
	s_and_b32 s7, exec_lo, s7
	s_or_b32 s19, s7, s19
	s_and_not1_b32 s7, s20, exec_lo
	s_and_b32 s20, s21, exec_lo
	s_delay_alu instid0(SALU_CYCLE_1)
	s_or_b32 s20, s7, s20
	s_and_not1_b32 exec_lo, exec_lo, s19
	s_cbranch_execz .LBB0_386
.LBB0_378:                              ;   Parent Loop BB0_32 Depth=1
                                        ;     Parent Loop BB0_370 Depth=2
                                        ; =>    This Inner Loop Header: Depth=3
	s_delay_alu instid0(VALU_DEP_1)
	v_add_nc_u32_e32 v132, 1, v132
	v_mov_b32_e32 v130, 0
	s_mov_b32 s7, -1
	s_mov_b32 s23, -1
	s_mov_b32 s22, exec_lo
	;;#ASMSTART
	global_load_b128 v[18:21], v[83:84], off glc slc dlc
s_waitcnt vmcnt(0)

	;;#ASMEND
	v_cmpx_eq_u32_e32 0x2710, v132
	s_cbranch_execz .LBB0_384
; %bb.379:                              ;   in Loop: Header=BB0_378 Depth=3
	s_cbranch_execnz .LBB0_641
; %bb.380:                              ;   in Loop: Header=BB0_378 Depth=3
	ds_load_b64 v[132:133], v0
	v_mov_b32_e32 v130, 0
	s_mov_b32 s24, -1
	s_mov_b32 s23, exec_lo
	s_waitcnt vmcnt(0) lgkmcnt(0)
	s_waitcnt_vscnt null, 0x0
	flat_load_b32 v133, v[132:133] glc
	s_waitcnt vmcnt(0) lgkmcnt(0)
	buffer_gl1_inv
	buffer_gl0_inv
	v_mov_b32_e32 v132, 0
	v_cmpx_ne_u32_e32 0, v133
	s_cbranch_execz .LBB0_383
; %bb.381:                              ;   in Loop: Header=BB0_378 Depth=3
	ds_store_b32 v0, v133
	s_cbranch_execnz .LBB0_653
; %bb.382:                              ;   in Loop: Header=BB0_378 Depth=3
	v_mov_b32_e32 v130, 1
	s_xor_b32 s24, exec_lo, -1
.LBB0_383:                              ;   in Loop: Header=BB0_378 Depth=3
	s_or_b32 exec_lo, exec_lo, s23
	s_delay_alu instid0(SALU_CYCLE_1)
	s_or_not1_b32 s23, s24, exec_lo
.LBB0_384:                              ;   in Loop: Header=BB0_378 Depth=3
	s_or_b32 exec_lo, exec_lo, s22
	s_delay_alu instid0(SALU_CYCLE_1)
	s_or_b32 s21, s21, exec_lo
	s_and_saveexec_b32 s22, s23
	s_cbranch_execz .LBB0_377
; %bb.385:                              ;   in Loop: Header=BB0_378 Depth=3
	v_cmp_eq_u32_e32 vcc_lo, v64, v19
	v_cmp_eq_u32_e64 s7, v64, v21
	s_and_not1_b32 s21, s21, exec_lo
	s_delay_alu instid0(VALU_DEP_1) | instskip(NEXT) | instid1(SALU_CYCLE_1)
	s_and_b32 s7, vcc_lo, s7
	s_or_not1_b32 s7, s7, exec_lo
	s_branch .LBB0_377
.LBB0_386:                              ;   in Loop: Header=BB0_370 Depth=2
	s_or_b32 exec_lo, exec_lo, s19
	s_xor_b32 s7, s20, -1
	s_delay_alu instid0(SALU_CYCLE_1) | instskip(NEXT) | instid1(SALU_CYCLE_1)
	s_and_saveexec_b32 s19, s7
	s_xor_b32 s7, exec_lo, s19
	s_delay_alu instid0(SALU_CYCLE_1) | instskip(NEXT) | instid1(SALU_CYCLE_1)
	s_and_not1_saveexec_b32 s7, s7
	s_or_b32 exec_lo, exec_lo, s7
.LBB0_387:                              ;   in Loop: Header=BB0_370 Depth=2
	s_delay_alu instid0(SALU_CYCLE_1)
	s_or_b32 exec_lo, exec_lo, s8
.LBB0_388:                              ;   in Loop: Header=BB0_370 Depth=2
	s_delay_alu instid0(SALU_CYCLE_1) | instskip(SKIP_3) | instid1(VALU_DEP_1)
	s_or_b32 exec_lo, exec_lo, s18
	v_and_b32_e32 v19, 0xff, v18
	s_mov_b32 s7, 0
	s_mov_b32 s18, exec_lo
                                        ; implicit-def: $sgpr8
	v_cmpx_lt_i16_e32 0x7f, v19
	s_xor_b32 s18, exec_lo, s18
	s_cbranch_execnz .LBB0_534
; %bb.389:                              ;   in Loop: Header=BB0_370 Depth=2
	s_or_saveexec_b32 s18, s18
	v_mov_b32_e32 v21, s8
	s_xor_b32 exec_lo, exec_lo, s18
	s_cbranch_execnz .LBB0_537
.LBB0_390:                              ;   in Loop: Header=BB0_370 Depth=2
	s_or_b32 exec_lo, exec_lo, s18
	s_and_saveexec_b32 s8, s7
	s_cbranch_execz .LBB0_392
.LBB0_391:                              ;   in Loop: Header=BB0_370 Depth=2
	v_and_b32_e32 v19, 7, v18
	v_bfe_u32 v84, v18, 3, 4
	s_delay_alu instid0(VALU_DEP_2) | instskip(NEXT) | instid1(VALU_DEP_2)
	v_clz_i32_u32_e32 v21, v19
	v_cmp_eq_u32_e32 vcc_lo, 0, v84
	s_delay_alu instid0(VALU_DEP_2) | instskip(NEXT) | instid1(VALU_DEP_1)
	v_min_u32_e32 v21, 32, v21
	v_subrev_nc_u32_e32 v83, 28, v21
	v_sub_nc_u32_e32 v21, 29, v21
	v_lshlrev_b32_e32 v132, 24, v18
	s_delay_alu instid0(VALU_DEP_3) | instskip(NEXT) | instid1(VALU_DEP_3)
	v_lshlrev_b32_e32 v83, v83, v18
	v_cndmask_b32_e32 v21, v84, v21, vcc_lo
	s_delay_alu instid0(VALU_DEP_2) | instskip(NEXT) | instid1(VALU_DEP_2)
	v_and_b32_e32 v83, 7, v83
	v_lshl_add_u32 v21, v21, 23, 0x3b800000
	s_delay_alu instid0(VALU_DEP_2) | instskip(SKIP_1) | instid1(VALU_DEP_2)
	v_cndmask_b32_e32 v19, v19, v83, vcc_lo
	v_and_b32_e32 v83, 0x80000000, v132
	v_lshlrev_b32_e32 v19, 20, v19
	s_delay_alu instid0(VALU_DEP_1)
	v_or3_b32 v21, v83, v21, v19
.LBB0_392:                              ;   in Loop: Header=BB0_370 Depth=2
	s_or_b32 exec_lo, exec_lo, s8
	v_lshlrev_b32_e32 v19, 3, v87
	s_mov_b32 s7, 0
	s_mov_b32 s18, exec_lo
                                        ; implicit-def: $sgpr8
	s_waitcnt vmcnt(0) lgkmcnt(0)
	s_delay_alu instid0(VALU_DEP_1) | instskip(NEXT) | instid1(VALU_DEP_1)
	v_alignbit_b32 v99, v98, v99, v19
	v_and_b32_e32 v84, 0xff, v99
	s_delay_alu instid0(VALU_DEP_1)
	v_cmpx_lt_i16_e32 0x7f, v84
	s_xor_b32 s18, exec_lo, s18
	s_cbranch_execnz .LBB0_538
; %bb.393:                              ;   in Loop: Header=BB0_370 Depth=2
	s_or_saveexec_b32 s18, s18
	v_mov_b32_e32 v83, s8
	s_xor_b32 exec_lo, exec_lo, s18
	s_cbranch_execnz .LBB0_541
.LBB0_394:                              ;   in Loop: Header=BB0_370 Depth=2
	s_or_b32 exec_lo, exec_lo, s18
	s_and_saveexec_b32 s8, s7
	s_cbranch_execz .LBB0_396
.LBB0_395:                              ;   in Loop: Header=BB0_370 Depth=2
	v_bfe_u32 v133, v99, 3, 4
	s_delay_alu instid0(VALU_DEP_1) | instskip(SKIP_1) | instid1(VALU_DEP_1)
	v_cmp_eq_u32_e32 vcc_lo, 0, v133
	v_and_b32_e32 v83, 7, v99
	v_clz_i32_u32_e32 v84, v83
	s_delay_alu instid0(VALU_DEP_1) | instskip(NEXT) | instid1(VALU_DEP_1)
	v_min_u32_e32 v84, 32, v84
	v_subrev_nc_u32_e32 v132, 28, v84
	v_sub_nc_u32_e32 v84, 29, v84
	s_delay_alu instid0(VALU_DEP_2) | instskip(NEXT) | instid1(VALU_DEP_2)
	v_lshlrev_b32_e32 v132, v132, v99
	v_cndmask_b32_e32 v84, v133, v84, vcc_lo
	s_delay_alu instid0(VALU_DEP_2) | instskip(SKIP_1) | instid1(VALU_DEP_3)
	v_and_b32_e32 v132, 7, v132
	v_lshlrev_b32_e32 v134, 24, v99
	v_lshl_add_u32 v84, v84, 23, 0x3b800000
	s_delay_alu instid0(VALU_DEP_2) | instskip(NEXT) | instid1(VALU_DEP_1)
	v_dual_cndmask_b32 v83, v83, v132 :: v_dual_and_b32 v132, 0x80000000, v134
	v_lshlrev_b32_e32 v83, 20, v83
	s_delay_alu instid0(VALU_DEP_1)
	v_or3_b32 v83, v132, v84, v83
.LBB0_396:                              ;   in Loop: Header=BB0_370 Depth=2
	s_or_b32 exec_lo, exec_lo, s8
	s_delay_alu instid0(VALU_DEP_1) | instskip(NEXT) | instid1(VALU_DEP_1)
	v_add_f32_e32 v83, v21, v83
	v_and_b32_e32 v21, 0x7f800000, v83
	s_delay_alu instid0(VALU_DEP_1)
	v_cmp_ne_u32_e32 vcc_lo, 0x7f800000, v21
	v_mov_b32_e32 v21, 0x80
	s_and_saveexec_b32 s8, vcc_lo
	s_cbranch_execz .LBB0_404
; %bb.397:                              ;   in Loop: Header=BB0_370 Depth=2
	v_mov_b32_e32 v21, 0
	s_mov_b32 s18, exec_lo
	v_cmpx_ne_u32_e32 0, v83
	s_cbranch_execz .LBB0_403
; %bb.398:                              ;   in Loop: Header=BB0_370 Depth=2
	v_bfe_u32 v21, v83, 23, 8
	v_and_b32_e32 v84, 0x7fffff, v83
	s_delay_alu instid0(VALU_DEP_2) | instskip(SKIP_1) | instid1(VALU_DEP_3)
	v_sub_nc_u32_e32 v132, 0x78, v21
	v_cmp_gt_u32_e32 vcc_lo, 0x79, v21
	v_or_b32_e32 v133, 0x800000, v84
	s_delay_alu instid0(VALU_DEP_3) | instskip(SKIP_2) | instid1(VALU_DEP_3)
	v_cndmask_b32_e32 v132, 0, v132, vcc_lo
	v_cmp_eq_u32_e32 vcc_lo, 0, v21
	v_add_nc_u32_e32 v21, 0xffffff89, v21
	v_cndmask_b32_e64 v132, v132, 0x77, vcc_lo
	v_cndmask_b32_e32 v84, v133, v84, vcc_lo
	s_delay_alu instid0(VALU_DEP_3) | instskip(NEXT) | instid1(VALU_DEP_3)
	v_cndmask_b32_e64 v21, v21, 0xffffff8a, vcc_lo
	v_lshl_add_u32 v133, 0x100000, v132, -1
	s_delay_alu instid0(VALU_DEP_3) | instskip(SKIP_1) | instid1(VALU_DEP_4)
	v_lshrrev_b32_e32 v134, v132, v84
	v_lshlrev_b32_e64 v144, v132, 0x80000
	v_add_nc_u32_e32 v132, v132, v21
	s_delay_alu instid0(VALU_DEP_4) | instskip(NEXT) | instid1(VALU_DEP_4)
	v_and_b32_e32 v84, v133, v84
	v_bfe_u32 v135, v134, 20, 1
	s_delay_alu instid0(VALU_DEP_2) | instskip(NEXT) | instid1(VALU_DEP_2)
	v_cmp_eq_u32_e64 s7, v84, v144
	v_add_nc_u32_e32 v133, -1, v135
	s_delay_alu instid0(VALU_DEP_1) | instskip(SKIP_2) | instid1(VALU_DEP_2)
	v_cndmask_b32_e64 v84, 0, v133, s7
	v_lshrrev_b32_e32 v133, 23, v134
	s_mov_b32 s7, exec_lo
	v_add_nc_u32_e32 v84, v84, v134
	s_delay_alu instid0(VALU_DEP_2) | instskip(NEXT) | instid1(VALU_DEP_2)
	v_xor_b32_e32 v133, 1, v133
	v_and_b32_e32 v21, 0xfffff, v84
	s_delay_alu instid0(VALU_DEP_1) | instskip(NEXT) | instid1(VALU_DEP_3)
	v_add_nc_u32_e32 v84, v21, v134
                                        ; implicit-def: $vgpr21
	v_cmpx_ne_u32_e64 v132, v133
	s_xor_b32 s7, exec_lo, s7
; %bb.399:                              ;   in Loop: Header=BB0_370 Depth=2
	s_delay_alu instid0(VALU_DEP_2) | instskip(SKIP_2) | instid1(VALU_DEP_2)
	v_cmp_lt_u32_e32 vcc_lo, 0xffffff, v84
	v_sub_nc_u32_e32 v21, v132, v133
	v_cndmask_b32_e64 v132, 0, 1, vcc_lo
	v_add_co_ci_u32_e32 v21, vcc_lo, 0, v21, vcc_lo
	s_delay_alu instid0(VALU_DEP_2)
	v_lshrrev_b32_e32 v84, v132, v84
; %bb.400:                              ;   in Loop: Header=BB0_370 Depth=2
	s_and_not1_saveexec_b32 s7, s7
; %bb.401:                              ;   in Loop: Header=BB0_370 Depth=2
	s_delay_alu instid0(VALU_DEP_1)
	v_bfe_u32 v21, v84, 23, 1
; %bb.402:                              ;   in Loop: Header=BB0_370 Depth=2
	s_or_b32 exec_lo, exec_lo, s7
	v_lshrrev_b32_e32 v84, 20, v84
	s_delay_alu instid0(VALU_DEP_2) | instskip(SKIP_2) | instid1(VALU_DEP_2)
	v_cmp_gt_i32_e32 vcc_lo, 16, v21
	v_lshrrev_b32_e32 v83, 24, v83
	v_min_i32_e32 v132, 15, v21
	v_dual_cndmask_b32 v84, 7, v84 :: v_dual_and_b32 v83, 0x80, v83
	s_delay_alu instid0(VALU_DEP_1) | instskip(SKIP_1) | instid1(VALU_DEP_2)
	v_or_b32_e32 v21, v21, v84
	v_and_b32_e32 v133, 7, v84
	v_cmp_ne_u32_e32 vcc_lo, 0, v21
	v_lshlrev_b32_e32 v132, 3, v132
	s_delay_alu instid0(VALU_DEP_1) | instskip(NEXT) | instid1(VALU_DEP_1)
	v_or3_b32 v83, v132, v83, v133
	v_cndmask_b32_e32 v21, 0, v83, vcc_lo
.LBB0_403:                              ;   in Loop: Header=BB0_370 Depth=2
	s_or_b32 exec_lo, exec_lo, s18
.LBB0_404:                              ;   in Loop: Header=BB0_370 Depth=2
	s_delay_alu instid0(SALU_CYCLE_1) | instskip(SKIP_3) | instid1(VALU_DEP_1)
	s_or_b32 exec_lo, exec_lo, s8
	v_lshrrev_b16 v84, 8, v18
	s_mov_b32 s7, 0
	s_mov_b32 s18, exec_lo
                                        ; implicit-def: $sgpr8
	v_cmpx_lt_i16_e32 0x7f, v84
	s_xor_b32 s18, exec_lo, s18
	s_cbranch_execnz .LBB0_542
; %bb.405:                              ;   in Loop: Header=BB0_370 Depth=2
	s_or_saveexec_b32 s18, s18
	v_mov_b32_e32 v83, s8
	s_xor_b32 exec_lo, exec_lo, s18
	s_cbranch_execnz .LBB0_545
.LBB0_406:                              ;   in Loop: Header=BB0_370 Depth=2
	s_or_b32 exec_lo, exec_lo, s18
	s_and_saveexec_b32 s8, s7
	s_cbranch_execz .LBB0_408
.LBB0_407:                              ;   in Loop: Header=BB0_370 Depth=2
	v_and_b32_e32 v83, 0xffff, v84
	v_lshlrev_b32_e32 v84, 24, v84
	s_delay_alu instid0(VALU_DEP_2) | instskip(NEXT) | instid1(VALU_DEP_2)
	v_and_b32_e32 v132, 7, v83
	v_and_b32_e32 v84, 0x80000000, v84
	s_delay_alu instid0(VALU_DEP_2) | instskip(NEXT) | instid1(VALU_DEP_1)
	v_clz_i32_u32_e32 v133, v132
	v_min_u32_e32 v133, 32, v133
	s_delay_alu instid0(VALU_DEP_1) | instskip(SKIP_1) | instid1(VALU_DEP_2)
	v_subrev_nc_u32_e32 v134, 28, v133
	v_sub_nc_u32_e32 v133, 29, v133
	v_lshlrev_b32_e32 v134, v134, v83
	v_bfe_u32 v83, v83, 3, 4
	s_delay_alu instid0(VALU_DEP_2) | instskip(NEXT) | instid1(VALU_DEP_2)
	v_and_b32_e32 v134, 7, v134
	v_cmp_eq_u32_e32 vcc_lo, 0, v83
	s_delay_alu instid0(VALU_DEP_2) | instskip(NEXT) | instid1(VALU_DEP_1)
	v_dual_cndmask_b32 v83, v83, v133 :: v_dual_cndmask_b32 v132, v132, v134
	v_lshl_add_u32 v83, v83, 23, 0x3b800000
	s_delay_alu instid0(VALU_DEP_2) | instskip(NEXT) | instid1(VALU_DEP_1)
	v_lshlrev_b32_e32 v132, 20, v132
	v_or3_b32 v83, v84, v83, v132
.LBB0_408:                              ;   in Loop: Header=BB0_370 Depth=2
	s_or_b32 exec_lo, exec_lo, s8
	v_lshrrev_b16 v84, 8, v99
	s_mov_b32 s7, 0
	s_mov_b32 s18, exec_lo
                                        ; implicit-def: $sgpr8
	s_delay_alu instid0(VALU_DEP_1)
	v_cmpx_lt_i16_e32 0x7f, v84
	s_xor_b32 s18, exec_lo, s18
	s_cbranch_execnz .LBB0_546
; %bb.409:                              ;   in Loop: Header=BB0_370 Depth=2
	s_or_saveexec_b32 s18, s18
	v_mov_b32_e32 v132, s8
	s_xor_b32 exec_lo, exec_lo, s18
	s_cbranch_execnz .LBB0_549
.LBB0_410:                              ;   in Loop: Header=BB0_370 Depth=2
	s_or_b32 exec_lo, exec_lo, s18
	s_and_saveexec_b32 s8, s7
	s_cbranch_execz .LBB0_412
.LBB0_411:                              ;   in Loop: Header=BB0_370 Depth=2
	v_and_b32_e32 v132, 0xffff, v84
	v_lshlrev_b32_e32 v84, 24, v84
	s_delay_alu instid0(VALU_DEP_2) | instskip(NEXT) | instid1(VALU_DEP_2)
	v_and_b32_e32 v133, 7, v132
	v_and_b32_e32 v84, 0x80000000, v84
	s_delay_alu instid0(VALU_DEP_2) | instskip(NEXT) | instid1(VALU_DEP_1)
	v_clz_i32_u32_e32 v134, v133
	v_min_u32_e32 v134, 32, v134
	s_delay_alu instid0(VALU_DEP_1) | instskip(SKIP_1) | instid1(VALU_DEP_2)
	v_subrev_nc_u32_e32 v135, 28, v134
	v_sub_nc_u32_e32 v134, 29, v134
	v_lshlrev_b32_e32 v135, v135, v132
	v_bfe_u32 v132, v132, 3, 4
	s_delay_alu instid0(VALU_DEP_2) | instskip(NEXT) | instid1(VALU_DEP_2)
	v_and_b32_e32 v135, 7, v135
	v_cmp_eq_u32_e32 vcc_lo, 0, v132
	s_delay_alu instid0(VALU_DEP_2) | instskip(NEXT) | instid1(VALU_DEP_1)
	v_dual_cndmask_b32 v132, v132, v134 :: v_dual_cndmask_b32 v133, v133, v135
	v_lshl_add_u32 v132, v132, 23, 0x3b800000
	s_delay_alu instid0(VALU_DEP_2) | instskip(NEXT) | instid1(VALU_DEP_1)
	v_lshlrev_b32_e32 v133, 20, v133
	v_or3_b32 v132, v84, v132, v133
.LBB0_412:                              ;   in Loop: Header=BB0_370 Depth=2
	s_or_b32 exec_lo, exec_lo, s8
	s_delay_alu instid0(VALU_DEP_1) | instskip(NEXT) | instid1(VALU_DEP_1)
	v_add_f32_e32 v84, v83, v132
	v_and_b32_e32 v83, 0x7f800000, v84
	s_delay_alu instid0(VALU_DEP_1)
	v_cmp_ne_u32_e32 vcc_lo, 0x7f800000, v83
	v_mov_b32_e32 v83, 0x80
	s_and_saveexec_b32 s8, vcc_lo
	s_cbranch_execz .LBB0_420
; %bb.413:                              ;   in Loop: Header=BB0_370 Depth=2
	v_mov_b32_e32 v83, 0
	s_mov_b32 s18, exec_lo
	v_cmpx_ne_u32_e32 0, v84
	s_cbranch_execz .LBB0_419
; %bb.414:                              ;   in Loop: Header=BB0_370 Depth=2
	v_bfe_u32 v83, v84, 23, 8
	s_delay_alu instid0(VALU_DEP_1) | instskip(SKIP_1) | instid1(VALU_DEP_2)
	v_sub_nc_u32_e32 v133, 0x78, v83
	v_cmp_gt_u32_e32 vcc_lo, 0x79, v83
	v_dual_cndmask_b32 v133, 0, v133 :: v_dual_and_b32 v132, 0x7fffff, v84
	s_delay_alu instid0(VALU_DEP_1) | instskip(SKIP_2) | instid1(VALU_DEP_4)
	v_or_b32_e32 v134, 0x800000, v132
	v_cmp_eq_u32_e32 vcc_lo, 0, v83
	v_add_nc_u32_e32 v83, 0xffffff89, v83
	v_cndmask_b32_e64 v133, v133, 0x77, vcc_lo
	s_delay_alu instid0(VALU_DEP_4) | instskip(NEXT) | instid1(VALU_DEP_3)
	v_cndmask_b32_e32 v132, v134, v132, vcc_lo
	v_cndmask_b32_e64 v83, v83, 0xffffff8a, vcc_lo
	s_delay_alu instid0(VALU_DEP_3) | instskip(NEXT) | instid1(VALU_DEP_3)
	v_lshl_add_u32 v134, 0x100000, v133, -1
	v_lshrrev_b32_e32 v135, v133, v132
	v_lshlrev_b32_e64 v145, v133, 0x80000
	s_delay_alu instid0(VALU_DEP_4) | instskip(NEXT) | instid1(VALU_DEP_4)
	v_add_nc_u32_e32 v133, v133, v83
	v_and_b32_e32 v132, v134, v132
	s_delay_alu instid0(VALU_DEP_4) | instskip(NEXT) | instid1(VALU_DEP_2)
	v_bfe_u32 v144, v135, 20, 1
	v_cmp_eq_u32_e64 s7, v132, v145
	s_delay_alu instid0(VALU_DEP_2) | instskip(NEXT) | instid1(VALU_DEP_1)
	v_add_nc_u32_e32 v134, -1, v144
	v_cndmask_b32_e64 v132, 0, v134, s7
	v_lshrrev_b32_e32 v134, 23, v135
	s_mov_b32 s7, exec_lo
	s_delay_alu instid0(VALU_DEP_2) | instskip(NEXT) | instid1(VALU_DEP_2)
	v_add_nc_u32_e32 v132, v132, v135
	v_xor_b32_e32 v134, 1, v134
	s_delay_alu instid0(VALU_DEP_2) | instskip(NEXT) | instid1(VALU_DEP_1)
	v_and_b32_e32 v83, 0xfffff, v132
	v_add_nc_u32_e32 v132, v83, v135
                                        ; implicit-def: $vgpr83
	s_delay_alu instid0(VALU_DEP_3)
	v_cmpx_ne_u32_e64 v133, v134
	s_xor_b32 s7, exec_lo, s7
; %bb.415:                              ;   in Loop: Header=BB0_370 Depth=2
	s_delay_alu instid0(VALU_DEP_2) | instskip(SKIP_2) | instid1(VALU_DEP_2)
	v_cmp_lt_u32_e32 vcc_lo, 0xffffff, v132
	v_sub_nc_u32_e32 v83, v133, v134
	v_cndmask_b32_e64 v133, 0, 1, vcc_lo
	v_add_co_ci_u32_e32 v83, vcc_lo, 0, v83, vcc_lo
	s_delay_alu instid0(VALU_DEP_2)
	v_lshrrev_b32_e32 v132, v133, v132
; %bb.416:                              ;   in Loop: Header=BB0_370 Depth=2
	s_and_not1_saveexec_b32 s7, s7
; %bb.417:                              ;   in Loop: Header=BB0_370 Depth=2
	s_delay_alu instid0(VALU_DEP_1)
	v_bfe_u32 v83, v132, 23, 1
; %bb.418:                              ;   in Loop: Header=BB0_370 Depth=2
	s_or_b32 exec_lo, exec_lo, s7
	v_lshrrev_b32_e32 v132, 20, v132
	s_delay_alu instid0(VALU_DEP_2) | instskip(SKIP_2) | instid1(VALU_DEP_4)
	v_cmp_gt_i32_e32 vcc_lo, 16, v83
	v_lshrrev_b32_e32 v84, 24, v84
	v_min_i32_e32 v133, 15, v83
	v_cndmask_b32_e32 v132, 7, v132, vcc_lo
	s_delay_alu instid0(VALU_DEP_3) | instskip(NEXT) | instid1(VALU_DEP_3)
	v_and_b32_e32 v84, 0x80, v84
	v_lshlrev_b32_e32 v133, 3, v133
	s_delay_alu instid0(VALU_DEP_3) | instskip(SKIP_1) | instid1(VALU_DEP_2)
	v_and_b32_e32 v134, 7, v132
	v_or_b32_e32 v83, v83, v132
	v_or3_b32 v84, v133, v84, v134
	s_delay_alu instid0(VALU_DEP_2) | instskip(NEXT) | instid1(VALU_DEP_2)
	v_cmp_ne_u32_e32 vcc_lo, 0, v83
	v_cndmask_b32_e32 v83, 0, v84, vcc_lo
.LBB0_419:                              ;   in Loop: Header=BB0_370 Depth=2
	s_or_b32 exec_lo, exec_lo, s18
.LBB0_420:                              ;   in Loop: Header=BB0_370 Depth=2
	s_delay_alu instid0(SALU_CYCLE_1) | instskip(SKIP_3) | instid1(VALU_DEP_1)
	s_or_b32 exec_lo, exec_lo, s8
	v_lshrrev_b32_e32 v132, 16, v18
	s_mov_b32 s7, 0
	s_mov_b32 s18, exec_lo
                                        ; implicit-def: $sgpr8
	v_and_b32_e32 v133, 0xff, v132
	s_delay_alu instid0(VALU_DEP_1)
	v_cmpx_lt_i16_e64 0x7f, v133
	s_xor_b32 s18, exec_lo, s18
	s_cbranch_execnz .LBB0_550
; %bb.421:                              ;   in Loop: Header=BB0_370 Depth=2
	s_or_saveexec_b32 s18, s18
	v_mov_b32_e32 v84, s8
	s_xor_b32 exec_lo, exec_lo, s18
	s_cbranch_execnz .LBB0_553
.LBB0_422:                              ;   in Loop: Header=BB0_370 Depth=2
	s_or_b32 exec_lo, exec_lo, s18
	s_and_saveexec_b32 s8, s7
	s_cbranch_execz .LBB0_424
.LBB0_423:                              ;   in Loop: Header=BB0_370 Depth=2
	v_bfe_u32 v84, v18, 16, 3
	s_delay_alu instid0(VALU_DEP_1) | instskip(NEXT) | instid1(VALU_DEP_1)
	v_clz_i32_u32_e32 v133, v84
	v_min_u32_e32 v133, 32, v133
	s_delay_alu instid0(VALU_DEP_1) | instskip(SKIP_1) | instid1(VALU_DEP_2)
	v_subrev_nc_u32_e32 v134, 28, v133
	v_sub_nc_u32_e32 v133, 29, v133
	v_lshlrev_b32_e32 v132, v134, v132
	v_bfe_u32 v134, v18, 19, 4
	s_delay_alu instid0(VALU_DEP_1) | instskip(NEXT) | instid1(VALU_DEP_3)
	v_cmp_eq_u32_e32 vcc_lo, 0, v134
	v_dual_cndmask_b32 v133, v134, v133 :: v_dual_and_b32 v132, 7, v132
	s_delay_alu instid0(VALU_DEP_1) | instskip(NEXT) | instid1(VALU_DEP_2)
	v_dual_cndmask_b32 v84, v84, v132 :: v_dual_lshlrev_b32 v135, 8, v18
	v_lshl_add_u32 v133, v133, 23, 0x3b800000
	s_delay_alu instid0(VALU_DEP_2) | instskip(NEXT) | instid1(VALU_DEP_3)
	v_and_b32_e32 v132, 0x80000000, v135
	v_lshlrev_b32_e32 v84, 20, v84
	s_delay_alu instid0(VALU_DEP_1)
	v_or3_b32 v84, v132, v133, v84
.LBB0_424:                              ;   in Loop: Header=BB0_370 Depth=2
	s_or_b32 exec_lo, exec_lo, s8
	v_lshrrev_b32_e32 v132, 16, v99
	s_mov_b32 s7, 0
	s_mov_b32 s18, exec_lo
                                        ; implicit-def: $sgpr8
	s_delay_alu instid0(VALU_DEP_1) | instskip(NEXT) | instid1(VALU_DEP_1)
	v_and_b32_e32 v134, 0xff, v132
	v_cmpx_lt_i16_e64 0x7f, v134
	s_xor_b32 s18, exec_lo, s18
	s_cbranch_execnz .LBB0_554
; %bb.425:                              ;   in Loop: Header=BB0_370 Depth=2
	s_or_saveexec_b32 s18, s18
	v_mov_b32_e32 v133, s8
	s_xor_b32 exec_lo, exec_lo, s18
	s_cbranch_execnz .LBB0_557
.LBB0_426:                              ;   in Loop: Header=BB0_370 Depth=2
	s_or_b32 exec_lo, exec_lo, s18
	s_and_saveexec_b32 s8, s7
	s_cbranch_execz .LBB0_428
.LBB0_427:                              ;   in Loop: Header=BB0_370 Depth=2
	v_bfe_u32 v133, v99, 16, 3
	v_lshlrev_b32_e32 v144, 8, v99
	s_delay_alu instid0(VALU_DEP_2) | instskip(NEXT) | instid1(VALU_DEP_1)
	v_clz_i32_u32_e32 v134, v133
	v_min_u32_e32 v134, 32, v134
	s_delay_alu instid0(VALU_DEP_1) | instskip(SKIP_1) | instid1(VALU_DEP_2)
	v_subrev_nc_u32_e32 v135, 28, v134
	v_sub_nc_u32_e32 v134, 29, v134
	v_lshlrev_b32_e32 v132, v135, v132
	v_bfe_u32 v135, v99, 19, 4
	s_delay_alu instid0(VALU_DEP_2) | instskip(NEXT) | instid1(VALU_DEP_2)
	v_and_b32_e32 v132, 7, v132
	v_cmp_eq_u32_e32 vcc_lo, 0, v135
	v_cndmask_b32_e32 v134, v135, v134, vcc_lo
	s_delay_alu instid0(VALU_DEP_3) | instskip(SKIP_1) | instid1(VALU_DEP_3)
	v_cndmask_b32_e32 v132, v133, v132, vcc_lo
	v_and_b32_e32 v133, 0x80000000, v144
	v_lshl_add_u32 v134, v134, 23, 0x3b800000
	s_delay_alu instid0(VALU_DEP_3) | instskip(NEXT) | instid1(VALU_DEP_1)
	v_lshlrev_b32_e32 v132, 20, v132
	v_or3_b32 v133, v133, v134, v132
.LBB0_428:                              ;   in Loop: Header=BB0_370 Depth=2
	s_or_b32 exec_lo, exec_lo, s8
	s_delay_alu instid0(VALU_DEP_1) | instskip(NEXT) | instid1(VALU_DEP_1)
	v_add_f32_e32 v132, v84, v133
	v_and_b32_e32 v84, 0x7f800000, v132
	s_delay_alu instid0(VALU_DEP_1)
	v_cmp_ne_u32_e32 vcc_lo, 0x7f800000, v84
	v_mov_b32_e32 v84, 0x80
	s_and_saveexec_b32 s8, vcc_lo
	s_cbranch_execz .LBB0_436
; %bb.429:                              ;   in Loop: Header=BB0_370 Depth=2
	v_mov_b32_e32 v84, 0
	s_mov_b32 s18, exec_lo
	v_cmpx_ne_u32_e32 0, v132
	s_cbranch_execz .LBB0_435
; %bb.430:                              ;   in Loop: Header=BB0_370 Depth=2
	v_bfe_u32 v84, v132, 23, 8
	s_delay_alu instid0(VALU_DEP_1) | instskip(SKIP_1) | instid1(VALU_DEP_2)
	v_sub_nc_u32_e32 v134, 0x78, v84
	v_cmp_gt_u32_e32 vcc_lo, 0x79, v84
	v_dual_cndmask_b32 v134, 0, v134 :: v_dual_and_b32 v133, 0x7fffff, v132
	s_delay_alu instid0(VALU_DEP_1) | instskip(SKIP_2) | instid1(VALU_DEP_4)
	v_or_b32_e32 v135, 0x800000, v133
	v_cmp_eq_u32_e32 vcc_lo, 0, v84
	v_add_nc_u32_e32 v84, 0xffffff89, v84
	v_cndmask_b32_e64 v134, v134, 0x77, vcc_lo
	s_delay_alu instid0(VALU_DEP_4) | instskip(NEXT) | instid1(VALU_DEP_3)
	v_cndmask_b32_e32 v133, v135, v133, vcc_lo
	v_cndmask_b32_e64 v84, v84, 0xffffff8a, vcc_lo
	s_delay_alu instid0(VALU_DEP_3) | instskip(NEXT) | instid1(VALU_DEP_3)
	v_lshl_add_u32 v135, 0x100000, v134, -1
	v_lshrrev_b32_e32 v144, v134, v133
	v_lshlrev_b32_e64 v146, v134, 0x80000
	s_delay_alu instid0(VALU_DEP_4) | instskip(NEXT) | instid1(VALU_DEP_4)
	v_add_nc_u32_e32 v134, v134, v84
	v_and_b32_e32 v133, v135, v133
	s_delay_alu instid0(VALU_DEP_4) | instskip(NEXT) | instid1(VALU_DEP_2)
	v_bfe_u32 v145, v144, 20, 1
	v_cmp_eq_u32_e64 s7, v133, v146
	s_delay_alu instid0(VALU_DEP_2) | instskip(NEXT) | instid1(VALU_DEP_1)
	v_add_nc_u32_e32 v135, -1, v145
	v_cndmask_b32_e64 v133, 0, v135, s7
	v_lshrrev_b32_e32 v135, 23, v144
	s_mov_b32 s7, exec_lo
	s_delay_alu instid0(VALU_DEP_2) | instskip(NEXT) | instid1(VALU_DEP_2)
	v_add_nc_u32_e32 v133, v133, v144
	v_xor_b32_e32 v135, 1, v135
	s_delay_alu instid0(VALU_DEP_2) | instskip(NEXT) | instid1(VALU_DEP_1)
	v_and_b32_e32 v84, 0xfffff, v133
	v_add_nc_u32_e32 v133, v84, v144
                                        ; implicit-def: $vgpr84
	s_delay_alu instid0(VALU_DEP_3)
	v_cmpx_ne_u32_e64 v134, v135
	s_xor_b32 s7, exec_lo, s7
; %bb.431:                              ;   in Loop: Header=BB0_370 Depth=2
	s_delay_alu instid0(VALU_DEP_2) | instskip(SKIP_2) | instid1(VALU_DEP_2)
	v_cmp_lt_u32_e32 vcc_lo, 0xffffff, v133
	v_sub_nc_u32_e32 v84, v134, v135
	v_cndmask_b32_e64 v134, 0, 1, vcc_lo
	v_add_co_ci_u32_e32 v84, vcc_lo, 0, v84, vcc_lo
	s_delay_alu instid0(VALU_DEP_2)
	v_lshrrev_b32_e32 v133, v134, v133
; %bb.432:                              ;   in Loop: Header=BB0_370 Depth=2
	s_and_not1_saveexec_b32 s7, s7
; %bb.433:                              ;   in Loop: Header=BB0_370 Depth=2
	s_delay_alu instid0(VALU_DEP_1)
	v_bfe_u32 v84, v133, 23, 1
; %bb.434:                              ;   in Loop: Header=BB0_370 Depth=2
	s_or_b32 exec_lo, exec_lo, s7
	v_lshrrev_b32_e32 v133, 20, v133
	s_delay_alu instid0(VALU_DEP_2) | instskip(SKIP_2) | instid1(VALU_DEP_2)
	v_cmp_gt_i32_e32 vcc_lo, 16, v84
	v_lshrrev_b32_e32 v132, 24, v132
	v_min_i32_e32 v134, 15, v84
	v_dual_cndmask_b32 v133, 7, v133 :: v_dual_and_b32 v132, 0x80, v132
	s_delay_alu instid0(VALU_DEP_2) | instskip(NEXT) | instid1(VALU_DEP_2)
	v_lshlrev_b32_e32 v134, 3, v134
	v_or_b32_e32 v84, v84, v133
	s_delay_alu instid0(VALU_DEP_1) | instskip(SKIP_1) | instid1(VALU_DEP_1)
	v_cmp_ne_u32_e32 vcc_lo, 0, v84
	v_and_b32_e32 v135, 7, v133
	v_or3_b32 v132, v134, v132, v135
	s_delay_alu instid0(VALU_DEP_1)
	v_cndmask_b32_e32 v84, 0, v132, vcc_lo
.LBB0_435:                              ;   in Loop: Header=BB0_370 Depth=2
	s_or_b32 exec_lo, exec_lo, s18
.LBB0_436:                              ;   in Loop: Header=BB0_370 Depth=2
	s_delay_alu instid0(SALU_CYCLE_1) | instskip(SKIP_3) | instid1(VALU_DEP_1)
	s_or_b32 exec_lo, exec_lo, s8
	v_lshrrev_b32_e32 v133, 24, v18
	s_mov_b32 s7, 0
	s_mov_b32 s18, exec_lo
                                        ; implicit-def: $sgpr8
	v_cmpx_lt_i16_e64 0x7f, v133
	s_xor_b32 s18, exec_lo, s18
	s_cbranch_execnz .LBB0_558
; %bb.437:                              ;   in Loop: Header=BB0_370 Depth=2
	s_or_saveexec_b32 s18, s18
	v_mov_b32_e32 v132, s8
	s_xor_b32 exec_lo, exec_lo, s18
	s_cbranch_execnz .LBB0_561
.LBB0_438:                              ;   in Loop: Header=BB0_370 Depth=2
	s_or_b32 exec_lo, exec_lo, s18
	s_and_saveexec_b32 s8, s7
	s_cbranch_execz .LBB0_440
.LBB0_439:                              ;   in Loop: Header=BB0_370 Depth=2
	v_bfe_u32 v132, v18, 24, 3
	s_delay_alu instid0(VALU_DEP_1) | instskip(NEXT) | instid1(VALU_DEP_1)
	v_clz_i32_u32_e32 v134, v132
	v_min_u32_e32 v134, 32, v134
	s_delay_alu instid0(VALU_DEP_1) | instskip(SKIP_1) | instid1(VALU_DEP_2)
	v_subrev_nc_u32_e32 v135, 28, v134
	v_sub_nc_u32_e32 v134, 29, v134
	v_lshlrev_b32_e32 v133, v135, v133
	v_bfe_u32 v135, v18, 27, 4
	v_and_b32_e32 v18, 0x80000000, v18
	s_delay_alu instid0(VALU_DEP_2) | instskip(NEXT) | instid1(VALU_DEP_4)
	v_cmp_eq_u32_e32 vcc_lo, 0, v135
	v_dual_cndmask_b32 v134, v135, v134 :: v_dual_and_b32 v133, 7, v133
	s_delay_alu instid0(VALU_DEP_1) | instskip(NEXT) | instid1(VALU_DEP_2)
	v_cndmask_b32_e32 v132, v132, v133, vcc_lo
	v_lshl_add_u32 v133, v134, 23, 0x3b800000
	s_delay_alu instid0(VALU_DEP_2) | instskip(NEXT) | instid1(VALU_DEP_1)
	v_lshlrev_b32_e32 v132, 20, v132
	v_or3_b32 v132, v18, v133, v132
.LBB0_440:                              ;   in Loop: Header=BB0_370 Depth=2
	s_or_b32 exec_lo, exec_lo, s8
	v_lshrrev_b32_e32 v18, 24, v99
	s_mov_b32 s7, 0
	s_mov_b32 s18, exec_lo
                                        ; implicit-def: $sgpr8
	s_delay_alu instid0(VALU_DEP_1)
	v_cmpx_lt_i16_e32 0x7f, v18
	s_xor_b32 s18, exec_lo, s18
	s_cbranch_execnz .LBB0_562
; %bb.441:                              ;   in Loop: Header=BB0_370 Depth=2
	s_or_saveexec_b32 s18, s18
	v_mov_b32_e32 v133, s8
	s_xor_b32 exec_lo, exec_lo, s18
	s_cbranch_execnz .LBB0_565
.LBB0_442:                              ;   in Loop: Header=BB0_370 Depth=2
	s_or_b32 exec_lo, exec_lo, s18
	s_and_saveexec_b32 s8, s7
	s_cbranch_execz .LBB0_444
.LBB0_443:                              ;   in Loop: Header=BB0_370 Depth=2
	v_bfe_u32 v133, v99, 24, 3
	s_delay_alu instid0(VALU_DEP_1) | instskip(NEXT) | instid1(VALU_DEP_1)
	v_clz_i32_u32_e32 v134, v133
	v_min_u32_e32 v134, 32, v134
	s_delay_alu instid0(VALU_DEP_1) | instskip(SKIP_1) | instid1(VALU_DEP_2)
	v_subrev_nc_u32_e32 v135, 28, v134
	v_sub_nc_u32_e32 v134, 29, v134
	v_lshlrev_b32_e32 v18, v135, v18
	v_bfe_u32 v135, v99, 27, 4
	v_and_b32_e32 v99, 0x80000000, v99
	s_delay_alu instid0(VALU_DEP_3) | instskip(NEXT) | instid1(VALU_DEP_3)
	v_and_b32_e32 v18, 7, v18
	v_cmp_eq_u32_e32 vcc_lo, 0, v135
	v_cndmask_b32_e32 v134, v135, v134, vcc_lo
	s_delay_alu instid0(VALU_DEP_3) | instskip(NEXT) | instid1(VALU_DEP_2)
	v_cndmask_b32_e32 v18, v133, v18, vcc_lo
	v_lshl_add_u32 v133, v134, 23, 0x3b800000
	s_delay_alu instid0(VALU_DEP_2) | instskip(NEXT) | instid1(VALU_DEP_1)
	v_lshlrev_b32_e32 v18, 20, v18
	v_or3_b32 v133, v99, v133, v18
.LBB0_444:                              ;   in Loop: Header=BB0_370 Depth=2
	s_or_b32 exec_lo, exec_lo, s8
	s_delay_alu instid0(VALU_DEP_1) | instskip(NEXT) | instid1(VALU_DEP_1)
	v_add_f32_e32 v99, v132, v133
	v_and_b32_e32 v18, 0x7f800000, v99
	s_delay_alu instid0(VALU_DEP_1)
	v_cmp_ne_u32_e32 vcc_lo, 0x7f800000, v18
	v_mov_b32_e32 v18, 0x80
	s_and_saveexec_b32 s8, vcc_lo
	s_cbranch_execz .LBB0_452
; %bb.445:                              ;   in Loop: Header=BB0_370 Depth=2
	v_mov_b32_e32 v18, 0
	s_mov_b32 s18, exec_lo
	v_cmpx_ne_u32_e32 0, v99
	s_cbranch_execz .LBB0_451
; %bb.446:                              ;   in Loop: Header=BB0_370 Depth=2
	v_bfe_u32 v18, v99, 23, 8
	s_delay_alu instid0(VALU_DEP_1) | instskip(SKIP_1) | instid1(VALU_DEP_2)
	v_sub_nc_u32_e32 v133, 0x78, v18
	v_cmp_gt_u32_e32 vcc_lo, 0x79, v18
	v_dual_cndmask_b32 v133, 0, v133 :: v_dual_and_b32 v132, 0x7fffff, v99
	s_delay_alu instid0(VALU_DEP_1) | instskip(SKIP_2) | instid1(VALU_DEP_4)
	v_or_b32_e32 v134, 0x800000, v132
	v_cmp_eq_u32_e32 vcc_lo, 0, v18
	v_add_nc_u32_e32 v18, 0xffffff89, v18
	v_cndmask_b32_e64 v133, v133, 0x77, vcc_lo
	s_delay_alu instid0(VALU_DEP_2) | instskip(SKIP_1) | instid1(VALU_DEP_3)
	v_cndmask_b32_e64 v18, v18, 0xffffff8a, vcc_lo
	v_cndmask_b32_e32 v132, v134, v132, vcc_lo
	v_lshl_add_u32 v134, 0x100000, v133, -1
	v_lshlrev_b32_e64 v145, v133, 0x80000
	s_delay_alu instid0(VALU_DEP_3) | instskip(SKIP_1) | instid1(VALU_DEP_4)
	v_lshrrev_b32_e32 v135, v133, v132
	v_add_nc_u32_e32 v133, v133, v18
	v_and_b32_e32 v132, v134, v132
	s_delay_alu instid0(VALU_DEP_3) | instskip(NEXT) | instid1(VALU_DEP_2)
	v_bfe_u32 v144, v135, 20, 1
	v_cmp_eq_u32_e64 s7, v132, v145
	s_delay_alu instid0(VALU_DEP_2) | instskip(NEXT) | instid1(VALU_DEP_1)
	v_add_nc_u32_e32 v134, -1, v144
	v_cndmask_b32_e64 v132, 0, v134, s7
	v_lshrrev_b32_e32 v134, 23, v135
	s_mov_b32 s7, exec_lo
	s_delay_alu instid0(VALU_DEP_2) | instskip(NEXT) | instid1(VALU_DEP_2)
	v_add_nc_u32_e32 v132, v132, v135
	v_xor_b32_e32 v134, 1, v134
	s_delay_alu instid0(VALU_DEP_2) | instskip(NEXT) | instid1(VALU_DEP_1)
	v_and_b32_e32 v18, 0xfffff, v132
	v_add_nc_u32_e32 v132, v18, v135
                                        ; implicit-def: $vgpr18
	s_delay_alu instid0(VALU_DEP_3)
	v_cmpx_ne_u32_e64 v133, v134
	s_xor_b32 s7, exec_lo, s7
; %bb.447:                              ;   in Loop: Header=BB0_370 Depth=2
	s_delay_alu instid0(VALU_DEP_2) | instskip(SKIP_2) | instid1(VALU_DEP_2)
	v_cmp_lt_u32_e32 vcc_lo, 0xffffff, v132
	v_sub_nc_u32_e32 v18, v133, v134
	v_cndmask_b32_e64 v133, 0, 1, vcc_lo
	v_add_co_ci_u32_e32 v18, vcc_lo, 0, v18, vcc_lo
	s_delay_alu instid0(VALU_DEP_2)
	v_lshrrev_b32_e32 v132, v133, v132
; %bb.448:                              ;   in Loop: Header=BB0_370 Depth=2
	s_and_not1_saveexec_b32 s7, s7
; %bb.449:                              ;   in Loop: Header=BB0_370 Depth=2
	s_delay_alu instid0(VALU_DEP_1)
	v_bfe_u32 v18, v132, 23, 1
; %bb.450:                              ;   in Loop: Header=BB0_370 Depth=2
	s_or_b32 exec_lo, exec_lo, s7
	v_lshrrev_b32_e32 v132, 20, v132
	s_delay_alu instid0(VALU_DEP_2) | instskip(SKIP_2) | instid1(VALU_DEP_2)
	v_cmp_gt_i32_e32 vcc_lo, 16, v18
	v_lshrrev_b32_e32 v99, 24, v99
	v_min_i32_e32 v133, 15, v18
	v_dual_cndmask_b32 v132, 7, v132 :: v_dual_and_b32 v99, 0x80, v99
	s_delay_alu instid0(VALU_DEP_1) | instskip(SKIP_1) | instid1(VALU_DEP_2)
	v_or_b32_e32 v18, v18, v132
	v_and_b32_e32 v134, 7, v132
	v_cmp_ne_u32_e32 vcc_lo, 0, v18
	v_lshlrev_b32_e32 v133, 3, v133
	s_delay_alu instid0(VALU_DEP_1) | instskip(NEXT) | instid1(VALU_DEP_1)
	v_or3_b32 v99, v133, v99, v134
	v_cndmask_b32_e32 v18, 0, v99, vcc_lo
.LBB0_451:                              ;   in Loop: Header=BB0_370 Depth=2
	s_or_b32 exec_lo, exec_lo, s18
.LBB0_452:                              ;   in Loop: Header=BB0_370 Depth=2
	s_delay_alu instid0(SALU_CYCLE_1) | instskip(SKIP_3) | instid1(VALU_DEP_1)
	s_or_b32 exec_lo, exec_lo, s8
	v_and_b32_e32 v99, 0xff, v20
	s_mov_b32 s7, 0
	s_mov_b32 s18, exec_lo
                                        ; implicit-def: $sgpr8
	v_cmpx_lt_i16_e32 0x7f, v99
	s_xor_b32 s18, exec_lo, s18
	s_cbranch_execnz .LBB0_566
; %bb.453:                              ;   in Loop: Header=BB0_370 Depth=2
	s_or_saveexec_b32 s18, s18
	v_mov_b32_e32 v132, s8
	s_xor_b32 exec_lo, exec_lo, s18
	s_cbranch_execnz .LBB0_569
.LBB0_454:                              ;   in Loop: Header=BB0_370 Depth=2
	s_or_b32 exec_lo, exec_lo, s18
	s_and_saveexec_b32 s8, s7
	s_cbranch_execz .LBB0_456
.LBB0_455:                              ;   in Loop: Header=BB0_370 Depth=2
	v_and_b32_e32 v99, 7, v20
	v_bfe_u32 v134, v20, 3, 4
	v_lshlrev_b32_e32 v135, 24, v20
	s_delay_alu instid0(VALU_DEP_3) | instskip(NEXT) | instid1(VALU_DEP_3)
	v_clz_i32_u32_e32 v132, v99
	v_cmp_eq_u32_e32 vcc_lo, 0, v134
	s_delay_alu instid0(VALU_DEP_2) | instskip(NEXT) | instid1(VALU_DEP_1)
	v_min_u32_e32 v132, 32, v132
	v_subrev_nc_u32_e32 v133, 28, v132
	v_sub_nc_u32_e32 v132, 29, v132
	s_delay_alu instid0(VALU_DEP_2) | instskip(NEXT) | instid1(VALU_DEP_1)
	v_lshlrev_b32_e32 v133, v133, v20
	v_dual_cndmask_b32 v132, v134, v132 :: v_dual_and_b32 v133, 7, v133
	s_delay_alu instid0(VALU_DEP_1) | instskip(NEXT) | instid1(VALU_DEP_2)
	v_lshl_add_u32 v132, v132, 23, 0x3b800000
	v_cndmask_b32_e32 v99, v99, v133, vcc_lo
	v_and_b32_e32 v133, 0x80000000, v135
	s_delay_alu instid0(VALU_DEP_2) | instskip(NEXT) | instid1(VALU_DEP_1)
	v_lshlrev_b32_e32 v99, 20, v99
	v_or3_b32 v132, v133, v132, v99
.LBB0_456:                              ;   in Loop: Header=BB0_370 Depth=2
	s_or_b32 exec_lo, exec_lo, s8
	v_alignbit_b32 v19, v97, v98, v19
	v_mov_b32_e32 v99, v20
	s_mov_b32 s7, 0
	s_mov_b32 s18, exec_lo
                                        ; implicit-def: $sgpr8
	s_delay_alu instid0(VALU_DEP_2) | instskip(NEXT) | instid1(VALU_DEP_1)
	v_and_b32_e32 v98, 0xff, v19
	v_cmpx_lt_i16_e32 0x7f, v98
	s_xor_b32 s18, exec_lo, s18
	s_cbranch_execnz .LBB0_570
; %bb.457:                              ;   in Loop: Header=BB0_370 Depth=2
	s_or_saveexec_b32 s18, s18
	v_mov_b32_e32 v97, s8
	s_xor_b32 exec_lo, exec_lo, s18
	s_cbranch_execnz .LBB0_573
.LBB0_458:                              ;   in Loop: Header=BB0_370 Depth=2
	s_or_b32 exec_lo, exec_lo, s18
	s_and_saveexec_b32 s8, s7
	s_cbranch_execz .LBB0_460
.LBB0_459:                              ;   in Loop: Header=BB0_370 Depth=2
	v_bfe_u32 v134, v19, 3, 4
	v_lshlrev_b32_e32 v135, 24, v19
	s_delay_alu instid0(VALU_DEP_2) | instskip(SKIP_1) | instid1(VALU_DEP_1)
	v_cmp_eq_u32_e32 vcc_lo, 0, v134
	v_and_b32_e32 v97, 7, v19
	v_clz_i32_u32_e32 v98, v97
	s_delay_alu instid0(VALU_DEP_1) | instskip(NEXT) | instid1(VALU_DEP_1)
	v_min_u32_e32 v98, 32, v98
	v_subrev_nc_u32_e32 v133, 28, v98
	v_sub_nc_u32_e32 v98, 29, v98
	s_delay_alu instid0(VALU_DEP_1) | instskip(NEXT) | instid1(VALU_DEP_1)
	v_dual_cndmask_b32 v98, v134, v98 :: v_dual_lshlrev_b32 v133, v133, v19
	v_and_b32_e32 v133, 7, v133
	s_delay_alu instid0(VALU_DEP_2) | instskip(NEXT) | instid1(VALU_DEP_2)
	v_lshl_add_u32 v98, v98, 23, 0x3b800000
	v_cndmask_b32_e32 v97, v97, v133, vcc_lo
	v_and_b32_e32 v133, 0x80000000, v135
	s_delay_alu instid0(VALU_DEP_2) | instskip(NEXT) | instid1(VALU_DEP_1)
	v_lshlrev_b32_e32 v97, 20, v97
	v_or3_b32 v97, v133, v98, v97
.LBB0_460:                              ;   in Loop: Header=BB0_370 Depth=2
	s_or_b32 exec_lo, exec_lo, s8
	s_delay_alu instid0(VALU_DEP_1) | instskip(NEXT) | instid1(VALU_DEP_1)
	v_add_f32_e32 v98, v132, v97
	v_and_b32_e32 v97, 0x7f800000, v98
	s_delay_alu instid0(VALU_DEP_1)
	v_cmp_ne_u32_e32 vcc_lo, 0x7f800000, v97
	v_mov_b32_e32 v97, 0x80
	s_and_saveexec_b32 s8, vcc_lo
	s_cbranch_execz .LBB0_468
; %bb.461:                              ;   in Loop: Header=BB0_370 Depth=2
	v_mov_b32_e32 v97, 0
	s_mov_b32 s18, exec_lo
	v_cmpx_ne_u32_e32 0, v98
	s_cbranch_execz .LBB0_467
; %bb.462:                              ;   in Loop: Header=BB0_370 Depth=2
	v_bfe_u32 v97, v98, 23, 8
	s_delay_alu instid0(VALU_DEP_1) | instskip(SKIP_1) | instid1(VALU_DEP_2)
	v_sub_nc_u32_e32 v133, 0x78, v97
	v_cmp_gt_u32_e32 vcc_lo, 0x79, v97
	v_dual_cndmask_b32 v133, 0, v133 :: v_dual_and_b32 v132, 0x7fffff, v98
	s_delay_alu instid0(VALU_DEP_1) | instskip(SKIP_2) | instid1(VALU_DEP_4)
	v_or_b32_e32 v134, 0x800000, v132
	v_cmp_eq_u32_e32 vcc_lo, 0, v97
	v_add_nc_u32_e32 v97, 0xffffff89, v97
	v_cndmask_b32_e64 v133, v133, 0x77, vcc_lo
	s_delay_alu instid0(VALU_DEP_4) | instskip(NEXT) | instid1(VALU_DEP_3)
	v_cndmask_b32_e32 v132, v134, v132, vcc_lo
	v_cndmask_b32_e64 v97, v97, 0xffffff8a, vcc_lo
	s_delay_alu instid0(VALU_DEP_3) | instskip(NEXT) | instid1(VALU_DEP_3)
	v_lshl_add_u32 v134, 0x100000, v133, -1
	v_lshrrev_b32_e32 v135, v133, v132
	v_lshlrev_b32_e64 v145, v133, 0x80000
	s_delay_alu instid0(VALU_DEP_4) | instskip(NEXT) | instid1(VALU_DEP_4)
	v_add_nc_u32_e32 v133, v133, v97
	v_and_b32_e32 v132, v134, v132
	s_delay_alu instid0(VALU_DEP_4) | instskip(NEXT) | instid1(VALU_DEP_2)
	v_bfe_u32 v144, v135, 20, 1
	v_cmp_eq_u32_e64 s7, v132, v145
	s_delay_alu instid0(VALU_DEP_2) | instskip(NEXT) | instid1(VALU_DEP_1)
	v_add_nc_u32_e32 v134, -1, v144
	v_cndmask_b32_e64 v132, 0, v134, s7
	v_lshrrev_b32_e32 v134, 23, v135
	s_mov_b32 s7, exec_lo
	s_delay_alu instid0(VALU_DEP_2) | instskip(NEXT) | instid1(VALU_DEP_2)
	v_add_nc_u32_e32 v132, v132, v135
	v_xor_b32_e32 v134, 1, v134
	s_delay_alu instid0(VALU_DEP_2) | instskip(NEXT) | instid1(VALU_DEP_1)
	v_and_b32_e32 v97, 0xfffff, v132
	v_add_nc_u32_e32 v132, v97, v135
                                        ; implicit-def: $vgpr97
	s_delay_alu instid0(VALU_DEP_3)
	v_cmpx_ne_u32_e64 v133, v134
	s_xor_b32 s7, exec_lo, s7
; %bb.463:                              ;   in Loop: Header=BB0_370 Depth=2
	s_delay_alu instid0(VALU_DEP_2) | instskip(SKIP_2) | instid1(VALU_DEP_2)
	v_cmp_lt_u32_e32 vcc_lo, 0xffffff, v132
	v_sub_nc_u32_e32 v97, v133, v134
	v_cndmask_b32_e64 v133, 0, 1, vcc_lo
	v_add_co_ci_u32_e32 v97, vcc_lo, 0, v97, vcc_lo
	s_delay_alu instid0(VALU_DEP_2)
	v_lshrrev_b32_e32 v132, v133, v132
; %bb.464:                              ;   in Loop: Header=BB0_370 Depth=2
	s_and_not1_saveexec_b32 s7, s7
; %bb.465:                              ;   in Loop: Header=BB0_370 Depth=2
	s_delay_alu instid0(VALU_DEP_1)
	v_bfe_u32 v97, v132, 23, 1
; %bb.466:                              ;   in Loop: Header=BB0_370 Depth=2
	s_or_b32 exec_lo, exec_lo, s7
	v_lshrrev_b32_e32 v132, 20, v132
	s_delay_alu instid0(VALU_DEP_2) | instskip(SKIP_2) | instid1(VALU_DEP_2)
	v_cmp_gt_i32_e32 vcc_lo, 16, v97
	v_min_i32_e32 v133, 15, v97
	v_lshrrev_b32_e32 v98, 24, v98
	v_dual_cndmask_b32 v132, 7, v132 :: v_dual_lshlrev_b32 v133, 3, v133
	s_delay_alu instid0(VALU_DEP_2) | instskip(NEXT) | instid1(VALU_DEP_2)
	v_and_b32_e32 v98, 0x80, v98
	v_or_b32_e32 v97, v97, v132
	s_delay_alu instid0(VALU_DEP_1) | instskip(SKIP_1) | instid1(VALU_DEP_1)
	v_cmp_ne_u32_e32 vcc_lo, 0, v97
	v_and_b32_e32 v134, 7, v132
	v_or3_b32 v98, v133, v98, v134
	s_delay_alu instid0(VALU_DEP_1)
	v_cndmask_b32_e32 v97, 0, v98, vcc_lo
.LBB0_467:                              ;   in Loop: Header=BB0_370 Depth=2
	s_or_b32 exec_lo, exec_lo, s18
.LBB0_468:                              ;   in Loop: Header=BB0_370 Depth=2
	s_delay_alu instid0(SALU_CYCLE_1) | instskip(SKIP_3) | instid1(VALU_DEP_1)
	s_or_b32 exec_lo, exec_lo, s8
	v_lshrrev_b16 v99, 8, v99
	s_mov_b32 s7, 0
	s_mov_b32 s18, exec_lo
                                        ; implicit-def: $sgpr8
	v_cmpx_lt_i16_e32 0x7f, v99
	s_xor_b32 s18, exec_lo, s18
	s_cbranch_execnz .LBB0_574
; %bb.469:                              ;   in Loop: Header=BB0_370 Depth=2
	s_or_saveexec_b32 s18, s18
	v_mov_b32_e32 v98, s8
	s_xor_b32 exec_lo, exec_lo, s18
	s_cbranch_execnz .LBB0_577
.LBB0_470:                              ;   in Loop: Header=BB0_370 Depth=2
	s_or_b32 exec_lo, exec_lo, s18
	s_and_saveexec_b32 s8, s7
	s_cbranch_execz .LBB0_472
.LBB0_471:                              ;   in Loop: Header=BB0_370 Depth=2
	v_and_b32_e32 v98, 0xffff, v99
	s_delay_alu instid0(VALU_DEP_1) | instskip(NEXT) | instid1(VALU_DEP_1)
	v_and_b32_e32 v132, 7, v98
	v_clz_i32_u32_e32 v133, v132
	s_delay_alu instid0(VALU_DEP_1) | instskip(NEXT) | instid1(VALU_DEP_1)
	v_min_u32_e32 v133, 32, v133
	v_subrev_nc_u32_e32 v134, 28, v133
	v_sub_nc_u32_e32 v133, 29, v133
	s_delay_alu instid0(VALU_DEP_2) | instskip(SKIP_1) | instid1(VALU_DEP_2)
	v_lshlrev_b32_e32 v134, v134, v98
	v_bfe_u32 v98, v98, 3, 4
	v_and_b32_e32 v134, 7, v134
	s_delay_alu instid0(VALU_DEP_2) | instskip(SKIP_1) | instid1(VALU_DEP_1)
	v_cmp_eq_u32_e32 vcc_lo, 0, v98
	v_dual_cndmask_b32 v98, v98, v133 :: v_dual_lshlrev_b32 v99, 24, v99
	v_dual_cndmask_b32 v132, v132, v134 :: v_dual_and_b32 v99, 0x80000000, v99
	s_delay_alu instid0(VALU_DEP_2) | instskip(NEXT) | instid1(VALU_DEP_2)
	v_lshl_add_u32 v98, v98, 23, 0x3b800000
	v_lshlrev_b32_e32 v132, 20, v132
	s_delay_alu instid0(VALU_DEP_1)
	v_or3_b32 v98, v99, v98, v132
.LBB0_472:                              ;   in Loop: Header=BB0_370 Depth=2
	s_or_b32 exec_lo, exec_lo, s8
	v_lshrrev_b16 v99, 8, v19
	s_mov_b32 s7, 0
	s_mov_b32 s18, exec_lo
                                        ; implicit-def: $sgpr8
	s_delay_alu instid0(VALU_DEP_1)
	v_cmpx_lt_i16_e32 0x7f, v99
	s_xor_b32 s18, exec_lo, s18
	s_cbranch_execnz .LBB0_578
; %bb.473:                              ;   in Loop: Header=BB0_370 Depth=2
	s_or_saveexec_b32 s18, s18
	v_mov_b32_e32 v132, s8
	s_xor_b32 exec_lo, exec_lo, s18
	s_cbranch_execnz .LBB0_581
.LBB0_474:                              ;   in Loop: Header=BB0_370 Depth=2
	s_or_b32 exec_lo, exec_lo, s18
	s_and_saveexec_b32 s8, s7
	s_cbranch_execz .LBB0_476
.LBB0_475:                              ;   in Loop: Header=BB0_370 Depth=2
	v_and_b32_e32 v132, 0xffff, v99
	v_lshlrev_b32_e32 v99, 24, v99
	s_delay_alu instid0(VALU_DEP_2) | instskip(NEXT) | instid1(VALU_DEP_2)
	v_and_b32_e32 v133, 7, v132
	v_and_b32_e32 v99, 0x80000000, v99
	s_delay_alu instid0(VALU_DEP_2) | instskip(NEXT) | instid1(VALU_DEP_1)
	v_clz_i32_u32_e32 v134, v133
	v_min_u32_e32 v134, 32, v134
	s_delay_alu instid0(VALU_DEP_1) | instskip(SKIP_1) | instid1(VALU_DEP_2)
	v_subrev_nc_u32_e32 v135, 28, v134
	v_sub_nc_u32_e32 v134, 29, v134
	v_lshlrev_b32_e32 v135, v135, v132
	v_bfe_u32 v132, v132, 3, 4
	s_delay_alu instid0(VALU_DEP_2) | instskip(NEXT) | instid1(VALU_DEP_2)
	v_and_b32_e32 v135, 7, v135
	v_cmp_eq_u32_e32 vcc_lo, 0, v132
	s_delay_alu instid0(VALU_DEP_2) | instskip(NEXT) | instid1(VALU_DEP_1)
	v_dual_cndmask_b32 v132, v132, v134 :: v_dual_cndmask_b32 v133, v133, v135
	v_lshl_add_u32 v132, v132, 23, 0x3b800000
	s_delay_alu instid0(VALU_DEP_2) | instskip(NEXT) | instid1(VALU_DEP_1)
	v_lshlrev_b32_e32 v133, 20, v133
	v_or3_b32 v132, v99, v132, v133
.LBB0_476:                              ;   in Loop: Header=BB0_370 Depth=2
	s_or_b32 exec_lo, exec_lo, s8
	s_delay_alu instid0(VALU_DEP_1) | instskip(NEXT) | instid1(VALU_DEP_1)
	v_add_f32_e32 v99, v98, v132
	v_and_b32_e32 v98, 0x7f800000, v99
	s_delay_alu instid0(VALU_DEP_1)
	v_cmp_ne_u32_e32 vcc_lo, 0x7f800000, v98
	v_mov_b32_e32 v98, 0x8000
	s_and_saveexec_b32 s8, vcc_lo
	s_cbranch_execz .LBB0_484
; %bb.477:                              ;   in Loop: Header=BB0_370 Depth=2
	v_mov_b32_e32 v98, 0
	s_mov_b32 s18, exec_lo
	v_cmpx_ne_u32_e32 0, v99
	s_cbranch_execz .LBB0_483
; %bb.478:                              ;   in Loop: Header=BB0_370 Depth=2
	v_bfe_u32 v98, v99, 23, 8
	s_delay_alu instid0(VALU_DEP_1) | instskip(SKIP_1) | instid1(VALU_DEP_2)
	v_sub_nc_u32_e32 v133, 0x78, v98
	v_cmp_gt_u32_e32 vcc_lo, 0x79, v98
	v_dual_cndmask_b32 v133, 0, v133 :: v_dual_and_b32 v132, 0x7fffff, v99
	s_delay_alu instid0(VALU_DEP_1) | instskip(SKIP_2) | instid1(VALU_DEP_4)
	v_or_b32_e32 v134, 0x800000, v132
	v_cmp_eq_u32_e32 vcc_lo, 0, v98
	v_add_nc_u32_e32 v98, 0xffffff89, v98
	v_cndmask_b32_e64 v133, v133, 0x77, vcc_lo
	s_delay_alu instid0(VALU_DEP_2) | instskip(SKIP_1) | instid1(VALU_DEP_3)
	v_cndmask_b32_e64 v98, v98, 0xffffff8a, vcc_lo
	v_cndmask_b32_e32 v132, v134, v132, vcc_lo
	v_lshl_add_u32 v134, 0x100000, v133, -1
	v_lshlrev_b32_e64 v145, v133, 0x80000
	s_delay_alu instid0(VALU_DEP_3) | instskip(SKIP_1) | instid1(VALU_DEP_4)
	v_lshrrev_b32_e32 v135, v133, v132
	v_add_nc_u32_e32 v133, v133, v98
	v_and_b32_e32 v132, v134, v132
	s_delay_alu instid0(VALU_DEP_3) | instskip(NEXT) | instid1(VALU_DEP_2)
	v_bfe_u32 v144, v135, 20, 1
	v_cmp_eq_u32_e64 s7, v132, v145
	s_delay_alu instid0(VALU_DEP_2) | instskip(NEXT) | instid1(VALU_DEP_1)
	v_add_nc_u32_e32 v134, -1, v144
	v_cndmask_b32_e64 v132, 0, v134, s7
	v_lshrrev_b32_e32 v134, 23, v135
	s_mov_b32 s7, exec_lo
	s_delay_alu instid0(VALU_DEP_2) | instskip(NEXT) | instid1(VALU_DEP_2)
	v_add_nc_u32_e32 v132, v132, v135
	v_xor_b32_e32 v134, 1, v134
	s_delay_alu instid0(VALU_DEP_2) | instskip(NEXT) | instid1(VALU_DEP_1)
	v_and_b32_e32 v98, 0xfffff, v132
	v_add_nc_u32_e32 v132, v98, v135
                                        ; implicit-def: $vgpr98
	s_delay_alu instid0(VALU_DEP_3)
	v_cmpx_ne_u32_e64 v133, v134
	s_xor_b32 s7, exec_lo, s7
; %bb.479:                              ;   in Loop: Header=BB0_370 Depth=2
	s_delay_alu instid0(VALU_DEP_2) | instskip(SKIP_2) | instid1(VALU_DEP_2)
	v_cmp_lt_u32_e32 vcc_lo, 0xffffff, v132
	v_sub_nc_u32_e32 v98, v133, v134
	v_cndmask_b32_e64 v133, 0, 1, vcc_lo
	v_add_co_ci_u32_e32 v98, vcc_lo, 0, v98, vcc_lo
	s_delay_alu instid0(VALU_DEP_2)
	v_lshrrev_b32_e32 v132, v133, v132
; %bb.480:                              ;   in Loop: Header=BB0_370 Depth=2
	s_and_not1_saveexec_b32 s7, s7
; %bb.481:                              ;   in Loop: Header=BB0_370 Depth=2
	s_delay_alu instid0(VALU_DEP_1)
	v_bfe_u32 v98, v132, 23, 1
; %bb.482:                              ;   in Loop: Header=BB0_370 Depth=2
	s_or_b32 exec_lo, exec_lo, s7
	v_lshrrev_b32_e32 v132, 20, v132
	s_delay_alu instid0(VALU_DEP_2) | instskip(SKIP_2) | instid1(VALU_DEP_2)
	v_cmp_gt_i32_e32 vcc_lo, 16, v98
	v_min_i32_e32 v133, 15, v98
	v_lshrrev_b32_e32 v99, 24, v99
	v_dual_cndmask_b32 v132, 7, v132 :: v_dual_lshlrev_b32 v133, 3, v133
	s_delay_alu instid0(VALU_DEP_2) | instskip(NEXT) | instid1(VALU_DEP_2)
	v_and_b32_e32 v99, 0x80, v99
	v_or_b32_e32 v98, v98, v132
	v_and_b32_e32 v134, 7, v132
	s_delay_alu instid0(VALU_DEP_2) | instskip(SKIP_1) | instid1(VALU_DEP_1)
	v_cmp_ne_u32_e32 vcc_lo, 0, v98
	v_and_b32_e32 v133, 0xf8, v133
	v_or3_b32 v99, v99, v133, v134
	s_delay_alu instid0(VALU_DEP_1) | instskip(NEXT) | instid1(VALU_DEP_1)
	v_lshlrev_b32_e32 v99, 8, v99
	v_cndmask_b32_e32 v98, 0, v99, vcc_lo
.LBB0_483:                              ;   in Loop: Header=BB0_370 Depth=2
	s_or_b32 exec_lo, exec_lo, s18
.LBB0_484:                              ;   in Loop: Header=BB0_370 Depth=2
	s_delay_alu instid0(SALU_CYCLE_1) | instskip(SKIP_3) | instid1(VALU_DEP_1)
	s_or_b32 exec_lo, exec_lo, s8
	v_lshrrev_b32_e32 v132, 16, v20
	s_mov_b32 s7, 0
	s_mov_b32 s18, exec_lo
                                        ; implicit-def: $sgpr8
	v_and_b32_e32 v133, 0xff, v132
	s_delay_alu instid0(VALU_DEP_1)
	v_cmpx_lt_i16_e64 0x7f, v133
	s_xor_b32 s18, exec_lo, s18
	s_cbranch_execnz .LBB0_582
; %bb.485:                              ;   in Loop: Header=BB0_370 Depth=2
	s_or_saveexec_b32 s18, s18
	v_mov_b32_e32 v99, s8
	s_xor_b32 exec_lo, exec_lo, s18
	s_cbranch_execnz .LBB0_585
.LBB0_486:                              ;   in Loop: Header=BB0_370 Depth=2
	s_or_b32 exec_lo, exec_lo, s18
	s_and_saveexec_b32 s8, s7
	s_cbranch_execz .LBB0_488
.LBB0_487:                              ;   in Loop: Header=BB0_370 Depth=2
	v_bfe_u32 v99, v20, 16, 3
	v_lshlrev_b32_e32 v135, 8, v20
	s_delay_alu instid0(VALU_DEP_2) | instskip(NEXT) | instid1(VALU_DEP_1)
	v_clz_i32_u32_e32 v133, v99
	v_min_u32_e32 v133, 32, v133
	s_delay_alu instid0(VALU_DEP_1) | instskip(SKIP_1) | instid1(VALU_DEP_2)
	v_subrev_nc_u32_e32 v134, 28, v133
	v_sub_nc_u32_e32 v133, 29, v133
	v_lshlrev_b32_e32 v132, v134, v132
	v_bfe_u32 v134, v20, 19, 4
	s_delay_alu instid0(VALU_DEP_1) | instskip(NEXT) | instid1(VALU_DEP_3)
	v_cmp_eq_u32_e32 vcc_lo, 0, v134
	v_dual_cndmask_b32 v133, v134, v133 :: v_dual_and_b32 v132, 7, v132
	s_delay_alu instid0(VALU_DEP_1) | instskip(NEXT) | instid1(VALU_DEP_2)
	v_dual_cndmask_b32 v99, v99, v132 :: v_dual_and_b32 v132, 0x80000000, v135
	v_lshl_add_u32 v133, v133, 23, 0x3b800000
	s_delay_alu instid0(VALU_DEP_2) | instskip(NEXT) | instid1(VALU_DEP_1)
	v_lshlrev_b32_e32 v99, 20, v99
	v_or3_b32 v99, v132, v133, v99
.LBB0_488:                              ;   in Loop: Header=BB0_370 Depth=2
	s_or_b32 exec_lo, exec_lo, s8
	v_lshrrev_b32_e32 v132, 16, v19
	s_mov_b32 s7, 0
	s_mov_b32 s18, exec_lo
                                        ; implicit-def: $sgpr8
	s_delay_alu instid0(VALU_DEP_1) | instskip(NEXT) | instid1(VALU_DEP_1)
	v_and_b32_e32 v134, 0xff, v132
	v_cmpx_lt_i16_e64 0x7f, v134
	s_xor_b32 s18, exec_lo, s18
	s_cbranch_execnz .LBB0_586
; %bb.489:                              ;   in Loop: Header=BB0_370 Depth=2
	s_or_saveexec_b32 s18, s18
	v_mov_b32_e32 v133, s8
	s_xor_b32 exec_lo, exec_lo, s18
	s_cbranch_execnz .LBB0_589
.LBB0_490:                              ;   in Loop: Header=BB0_370 Depth=2
	s_or_b32 exec_lo, exec_lo, s18
	s_and_saveexec_b32 s8, s7
	s_cbranch_execz .LBB0_492
.LBB0_491:                              ;   in Loop: Header=BB0_370 Depth=2
	v_bfe_u32 v133, v19, 16, 3
	v_lshlrev_b32_e32 v144, 8, v19
	s_delay_alu instid0(VALU_DEP_2) | instskip(NEXT) | instid1(VALU_DEP_1)
	v_clz_i32_u32_e32 v134, v133
	v_min_u32_e32 v134, 32, v134
	s_delay_alu instid0(VALU_DEP_1) | instskip(SKIP_1) | instid1(VALU_DEP_2)
	v_subrev_nc_u32_e32 v135, 28, v134
	v_sub_nc_u32_e32 v134, 29, v134
	v_lshlrev_b32_e32 v132, v135, v132
	v_bfe_u32 v135, v19, 19, 4
	s_delay_alu instid0(VALU_DEP_2) | instskip(NEXT) | instid1(VALU_DEP_2)
	v_and_b32_e32 v132, 7, v132
	v_cmp_eq_u32_e32 vcc_lo, 0, v135
	v_cndmask_b32_e32 v134, v135, v134, vcc_lo
	s_delay_alu instid0(VALU_DEP_3) | instskip(SKIP_1) | instid1(VALU_DEP_3)
	v_cndmask_b32_e32 v132, v133, v132, vcc_lo
	v_and_b32_e32 v133, 0x80000000, v144
	v_lshl_add_u32 v134, v134, 23, 0x3b800000
	s_delay_alu instid0(VALU_DEP_3) | instskip(NEXT) | instid1(VALU_DEP_1)
	v_lshlrev_b32_e32 v132, 20, v132
	v_or3_b32 v133, v133, v134, v132
.LBB0_492:                              ;   in Loop: Header=BB0_370 Depth=2
	s_or_b32 exec_lo, exec_lo, s8
	s_delay_alu instid0(VALU_DEP_1) | instskip(NEXT) | instid1(VALU_DEP_1)
	v_add_f32_e32 v132, v99, v133
	v_and_b32_e32 v99, 0x7f800000, v132
	s_delay_alu instid0(VALU_DEP_1)
	v_cmp_ne_u32_e32 vcc_lo, 0x7f800000, v99
	v_mov_b32_e32 v99, 0x80
	s_and_saveexec_b32 s8, vcc_lo
	s_cbranch_execz .LBB0_500
; %bb.493:                              ;   in Loop: Header=BB0_370 Depth=2
	v_mov_b32_e32 v99, 0
	s_mov_b32 s18, exec_lo
	v_cmpx_ne_u32_e32 0, v132
	s_cbranch_execz .LBB0_499
; %bb.494:                              ;   in Loop: Header=BB0_370 Depth=2
	v_bfe_u32 v99, v132, 23, 8
	s_delay_alu instid0(VALU_DEP_1) | instskip(SKIP_1) | instid1(VALU_DEP_2)
	v_sub_nc_u32_e32 v134, 0x78, v99
	v_cmp_gt_u32_e32 vcc_lo, 0x79, v99
	v_dual_cndmask_b32 v134, 0, v134 :: v_dual_and_b32 v133, 0x7fffff, v132
	s_delay_alu instid0(VALU_DEP_1) | instskip(SKIP_2) | instid1(VALU_DEP_4)
	v_or_b32_e32 v135, 0x800000, v133
	v_cmp_eq_u32_e32 vcc_lo, 0, v99
	v_add_nc_u32_e32 v99, 0xffffff89, v99
	v_cndmask_b32_e64 v134, v134, 0x77, vcc_lo
	s_delay_alu instid0(VALU_DEP_2) | instskip(SKIP_1) | instid1(VALU_DEP_3)
	v_cndmask_b32_e64 v99, v99, 0xffffff8a, vcc_lo
	v_cndmask_b32_e32 v133, v135, v133, vcc_lo
	v_lshl_add_u32 v135, 0x100000, v134, -1
	v_lshlrev_b32_e64 v146, v134, 0x80000
	s_delay_alu instid0(VALU_DEP_3) | instskip(SKIP_1) | instid1(VALU_DEP_4)
	v_lshrrev_b32_e32 v144, v134, v133
	v_add_nc_u32_e32 v134, v134, v99
	v_and_b32_e32 v133, v135, v133
	s_delay_alu instid0(VALU_DEP_3) | instskip(NEXT) | instid1(VALU_DEP_2)
	v_bfe_u32 v145, v144, 20, 1
	v_cmp_eq_u32_e64 s7, v133, v146
	s_delay_alu instid0(VALU_DEP_2) | instskip(NEXT) | instid1(VALU_DEP_1)
	v_add_nc_u32_e32 v135, -1, v145
	v_cndmask_b32_e64 v133, 0, v135, s7
	v_lshrrev_b32_e32 v135, 23, v144
	s_mov_b32 s7, exec_lo
	s_delay_alu instid0(VALU_DEP_2) | instskip(NEXT) | instid1(VALU_DEP_2)
	v_add_nc_u32_e32 v133, v133, v144
	v_xor_b32_e32 v135, 1, v135
	s_delay_alu instid0(VALU_DEP_2) | instskip(NEXT) | instid1(VALU_DEP_1)
	v_and_b32_e32 v99, 0xfffff, v133
	v_add_nc_u32_e32 v133, v99, v144
                                        ; implicit-def: $vgpr99
	s_delay_alu instid0(VALU_DEP_3)
	v_cmpx_ne_u32_e64 v134, v135
	s_xor_b32 s7, exec_lo, s7
; %bb.495:                              ;   in Loop: Header=BB0_370 Depth=2
	s_delay_alu instid0(VALU_DEP_2) | instskip(SKIP_2) | instid1(VALU_DEP_2)
	v_cmp_lt_u32_e32 vcc_lo, 0xffffff, v133
	v_sub_nc_u32_e32 v99, v134, v135
	v_cndmask_b32_e64 v134, 0, 1, vcc_lo
	v_add_co_ci_u32_e32 v99, vcc_lo, 0, v99, vcc_lo
	s_delay_alu instid0(VALU_DEP_2)
	v_lshrrev_b32_e32 v133, v134, v133
; %bb.496:                              ;   in Loop: Header=BB0_370 Depth=2
	s_and_not1_saveexec_b32 s7, s7
; %bb.497:                              ;   in Loop: Header=BB0_370 Depth=2
	s_delay_alu instid0(VALU_DEP_1)
	v_bfe_u32 v99, v133, 23, 1
; %bb.498:                              ;   in Loop: Header=BB0_370 Depth=2
	s_or_b32 exec_lo, exec_lo, s7
	v_lshrrev_b32_e32 v133, 20, v133
	s_delay_alu instid0(VALU_DEP_2) | instskip(SKIP_2) | instid1(VALU_DEP_2)
	v_cmp_gt_i32_e32 vcc_lo, 16, v99
	v_min_i32_e32 v134, 15, v99
	v_lshrrev_b32_e32 v132, 24, v132
	v_dual_cndmask_b32 v133, 7, v133 :: v_dual_lshlrev_b32 v134, 3, v134
	s_delay_alu instid0(VALU_DEP_2) | instskip(NEXT) | instid1(VALU_DEP_2)
	v_and_b32_e32 v132, 0x80, v132
	v_or_b32_e32 v99, v99, v133
	v_and_b32_e32 v135, 7, v133
	s_delay_alu instid0(VALU_DEP_2) | instskip(SKIP_1) | instid1(VALU_DEP_1)
	v_cmp_ne_u32_e32 vcc_lo, 0, v99
	v_and_b32_e32 v134, 0xf8, v134
	v_or3_b32 v132, v134, v132, v135
	s_delay_alu instid0(VALU_DEP_1)
	v_cndmask_b32_e32 v99, 0, v132, vcc_lo
.LBB0_499:                              ;   in Loop: Header=BB0_370 Depth=2
	s_or_b32 exec_lo, exec_lo, s18
.LBB0_500:                              ;   in Loop: Header=BB0_370 Depth=2
	s_delay_alu instid0(SALU_CYCLE_1) | instskip(SKIP_3) | instid1(VALU_DEP_1)
	s_or_b32 exec_lo, exec_lo, s8
	v_lshrrev_b32_e32 v133, 24, v20
	s_mov_b32 s7, 0
	s_mov_b32 s18, exec_lo
                                        ; implicit-def: $sgpr8
	v_cmpx_lt_i16_e64 0x7f, v133
	s_xor_b32 s18, exec_lo, s18
	s_cbranch_execnz .LBB0_590
; %bb.501:                              ;   in Loop: Header=BB0_370 Depth=2
	s_or_saveexec_b32 s18, s18
	v_mov_b32_e32 v132, s8
	s_xor_b32 exec_lo, exec_lo, s18
	s_cbranch_execnz .LBB0_593
.LBB0_502:                              ;   in Loop: Header=BB0_370 Depth=2
	s_or_b32 exec_lo, exec_lo, s18
	s_and_saveexec_b32 s8, s7
	s_cbranch_execz .LBB0_504
.LBB0_503:                              ;   in Loop: Header=BB0_370 Depth=2
	v_bfe_u32 v132, v20, 24, 3
	s_delay_alu instid0(VALU_DEP_1) | instskip(NEXT) | instid1(VALU_DEP_1)
	v_clz_i32_u32_e32 v134, v132
	v_min_u32_e32 v134, 32, v134
	s_delay_alu instid0(VALU_DEP_1) | instskip(SKIP_1) | instid1(VALU_DEP_2)
	v_subrev_nc_u32_e32 v135, 28, v134
	v_sub_nc_u32_e32 v134, 29, v134
	v_lshlrev_b32_e32 v133, v135, v133
	v_bfe_u32 v135, v20, 27, 4
	v_and_b32_e32 v20, 0x80000000, v20
	s_delay_alu instid0(VALU_DEP_2) | instskip(NEXT) | instid1(VALU_DEP_4)
	v_cmp_eq_u32_e32 vcc_lo, 0, v135
	v_dual_cndmask_b32 v134, v135, v134 :: v_dual_and_b32 v133, 7, v133
	s_delay_alu instid0(VALU_DEP_1) | instskip(NEXT) | instid1(VALU_DEP_2)
	v_cndmask_b32_e32 v132, v132, v133, vcc_lo
	v_lshl_add_u32 v133, v134, 23, 0x3b800000
	s_delay_alu instid0(VALU_DEP_2) | instskip(NEXT) | instid1(VALU_DEP_1)
	v_lshlrev_b32_e32 v132, 20, v132
	v_or3_b32 v132, v20, v133, v132
.LBB0_504:                              ;   in Loop: Header=BB0_370 Depth=2
	s_or_b32 exec_lo, exec_lo, s8
	v_lshrrev_b32_e32 v20, 24, v19
	s_mov_b32 s7, 0
	s_mov_b32 s18, exec_lo
                                        ; implicit-def: $sgpr8
	s_delay_alu instid0(VALU_DEP_1)
	v_cmpx_lt_i16_e32 0x7f, v20
	s_xor_b32 s18, exec_lo, s18
	s_cbranch_execnz .LBB0_594
; %bb.505:                              ;   in Loop: Header=BB0_370 Depth=2
	s_or_saveexec_b32 s18, s18
	v_mov_b32_e32 v133, s8
	s_xor_b32 exec_lo, exec_lo, s18
	s_cbranch_execnz .LBB0_597
.LBB0_506:                              ;   in Loop: Header=BB0_370 Depth=2
	s_or_b32 exec_lo, exec_lo, s18
	s_and_saveexec_b32 s8, s7
	s_cbranch_execz .LBB0_508
.LBB0_507:                              ;   in Loop: Header=BB0_370 Depth=2
	v_bfe_u32 v133, v19, 24, 3
	s_delay_alu instid0(VALU_DEP_1) | instskip(NEXT) | instid1(VALU_DEP_1)
	v_clz_i32_u32_e32 v134, v133
	v_min_u32_e32 v134, 32, v134
	s_delay_alu instid0(VALU_DEP_1) | instskip(SKIP_1) | instid1(VALU_DEP_2)
	v_subrev_nc_u32_e32 v135, 28, v134
	v_sub_nc_u32_e32 v134, 29, v134
	v_lshlrev_b32_e32 v20, v135, v20
	v_bfe_u32 v135, v19, 27, 4
	v_and_b32_e32 v19, 0x80000000, v19
	s_delay_alu instid0(VALU_DEP_3) | instskip(NEXT) | instid1(VALU_DEP_3)
	v_and_b32_e32 v20, 7, v20
	v_cmp_eq_u32_e32 vcc_lo, 0, v135
	v_cndmask_b32_e32 v134, v135, v134, vcc_lo
	s_delay_alu instid0(VALU_DEP_3) | instskip(NEXT) | instid1(VALU_DEP_2)
	v_cndmask_b32_e32 v20, v133, v20, vcc_lo
	v_lshl_add_u32 v133, v134, 23, 0x3b800000
	s_delay_alu instid0(VALU_DEP_2) | instskip(NEXT) | instid1(VALU_DEP_1)
	v_lshlrev_b32_e32 v20, 20, v20
	v_or3_b32 v133, v19, v133, v20
.LBB0_508:                              ;   in Loop: Header=BB0_370 Depth=2
	s_or_b32 exec_lo, exec_lo, s8
	s_delay_alu instid0(VALU_DEP_1) | instskip(SKIP_1) | instid1(VALU_DEP_1)
	v_dual_add_f32 v19, v132, v133 :: v_dual_mov_b32 v132, 0x8000
	s_mov_b32 s8, exec_lo
	v_and_b32_e32 v20, 0x7f800000, v19
	s_delay_alu instid0(VALU_DEP_1)
	v_cmpx_ne_u32_e32 0x7f800000, v20
	s_cbranch_execz .LBB0_516
; %bb.509:                              ;   in Loop: Header=BB0_370 Depth=2
	v_mov_b32_e32 v132, 0
	s_mov_b32 s18, exec_lo
	v_cmpx_ne_u32_e32 0, v19
	s_cbranch_execz .LBB0_515
; %bb.510:                              ;   in Loop: Header=BB0_370 Depth=2
	v_bfe_u32 v20, v19, 23, 8
	s_delay_alu instid0(VALU_DEP_1) | instskip(SKIP_1) | instid1(VALU_DEP_2)
	v_sub_nc_u32_e32 v133, 0x78, v20
	v_cmp_gt_u32_e32 vcc_lo, 0x79, v20
	v_dual_cndmask_b32 v133, 0, v133 :: v_dual_and_b32 v132, 0x7fffff, v19
	s_delay_alu instid0(VALU_DEP_1) | instskip(SKIP_2) | instid1(VALU_DEP_4)
	v_or_b32_e32 v134, 0x800000, v132
	v_cmp_eq_u32_e32 vcc_lo, 0, v20
	v_add_nc_u32_e32 v20, 0xffffff89, v20
	v_cndmask_b32_e64 v133, v133, 0x77, vcc_lo
	s_delay_alu instid0(VALU_DEP_4) | instskip(NEXT) | instid1(VALU_DEP_3)
	v_cndmask_b32_e32 v132, v134, v132, vcc_lo
	v_cndmask_b32_e64 v20, v20, 0xffffff8a, vcc_lo
	s_delay_alu instid0(VALU_DEP_3) | instskip(NEXT) | instid1(VALU_DEP_3)
	v_lshl_add_u32 v134, 0x100000, v133, -1
	v_lshrrev_b32_e32 v135, v133, v132
	v_lshlrev_b32_e64 v145, v133, 0x80000
	s_delay_alu instid0(VALU_DEP_4) | instskip(NEXT) | instid1(VALU_DEP_4)
	v_add_nc_u32_e32 v133, v133, v20
	v_and_b32_e32 v132, v134, v132
	s_delay_alu instid0(VALU_DEP_4) | instskip(NEXT) | instid1(VALU_DEP_2)
	v_bfe_u32 v144, v135, 20, 1
	v_cmp_eq_u32_e64 s7, v132, v145
	s_delay_alu instid0(VALU_DEP_2) | instskip(NEXT) | instid1(VALU_DEP_1)
	v_add_nc_u32_e32 v134, -1, v144
	v_cndmask_b32_e64 v132, 0, v134, s7
	v_lshrrev_b32_e32 v134, 23, v135
	s_mov_b32 s7, exec_lo
	s_delay_alu instid0(VALU_DEP_2) | instskip(NEXT) | instid1(VALU_DEP_2)
	v_add_nc_u32_e32 v132, v132, v135
	v_xor_b32_e32 v134, 1, v134
	s_delay_alu instid0(VALU_DEP_2) | instskip(NEXT) | instid1(VALU_DEP_1)
	v_and_b32_e32 v20, 0xfffff, v132
	v_add_nc_u32_e32 v132, v20, v135
                                        ; implicit-def: $vgpr20
	s_delay_alu instid0(VALU_DEP_3)
	v_cmpx_ne_u32_e64 v133, v134
	s_xor_b32 s7, exec_lo, s7
; %bb.511:                              ;   in Loop: Header=BB0_370 Depth=2
	s_delay_alu instid0(VALU_DEP_2) | instskip(SKIP_2) | instid1(VALU_DEP_2)
	v_cmp_lt_u32_e32 vcc_lo, 0xffffff, v132
	v_sub_nc_u32_e32 v20, v133, v134
	v_cndmask_b32_e64 v133, 0, 1, vcc_lo
	v_add_co_ci_u32_e32 v20, vcc_lo, 0, v20, vcc_lo
	s_delay_alu instid0(VALU_DEP_2)
	v_lshrrev_b32_e32 v132, v133, v132
; %bb.512:                              ;   in Loop: Header=BB0_370 Depth=2
	s_and_not1_saveexec_b32 s7, s7
; %bb.513:                              ;   in Loop: Header=BB0_370 Depth=2
	s_delay_alu instid0(VALU_DEP_1)
	v_bfe_u32 v20, v132, 23, 1
; %bb.514:                              ;   in Loop: Header=BB0_370 Depth=2
	s_or_b32 exec_lo, exec_lo, s7
	v_lshrrev_b32_e32 v132, 20, v132
	s_delay_alu instid0(VALU_DEP_2) | instskip(SKIP_2) | instid1(VALU_DEP_2)
	v_cmp_gt_i32_e32 vcc_lo, 16, v20
	v_min_i32_e32 v133, 15, v20
	v_lshrrev_b32_e32 v19, 24, v19
	v_dual_cndmask_b32 v132, 7, v132 :: v_dual_lshlrev_b32 v133, 3, v133
	s_delay_alu instid0(VALU_DEP_2) | instskip(NEXT) | instid1(VALU_DEP_2)
	v_and_b32_e32 v19, 0x80, v19
	v_or_b32_e32 v20, v20, v132
	v_and_b32_e32 v134, 7, v132
	s_delay_alu instid0(VALU_DEP_2) | instskip(SKIP_1) | instid1(VALU_DEP_1)
	v_cmp_ne_u32_e32 vcc_lo, 0, v20
	v_and_b32_e32 v133, 0xf8, v133
	v_or3_b32 v19, v19, v133, v134
	s_delay_alu instid0(VALU_DEP_1) | instskip(NEXT) | instid1(VALU_DEP_1)
	v_lshlrev_b32_e32 v19, 8, v19
	v_cndmask_b32_e32 v132, 0, v19, vcc_lo
.LBB0_515:                              ;   in Loop: Header=BB0_370 Depth=2
	s_or_b32 exec_lo, exec_lo, s18
.LBB0_516:                              ;   in Loop: Header=BB0_370 Depth=2
	s_delay_alu instid0(SALU_CYCLE_1)
	s_or_b32 exec_lo, exec_lo, s8
	v_cmp_lt_u32_e32 vcc_lo, 7, v131
	v_and_or_b32 v20, 0xff, v97, v98
	v_or_b32_e32 v97, v132, v99
	v_cndmask_b32_e64 v19, 0, 1, vcc_lo
	;;#ASMSTART
	;;#ASMEND
	s_delay_alu instid0(VALU_DEP_1) | instskip(NEXT) | instid1(VALU_DEP_3)
	v_cmp_ne_u32_e64 s7, 0, v19
	v_lshl_or_b32 v19, v97, 16, v20
	s_delay_alu instid0(VALU_DEP_2)
	s_cmp_lg_u32 s7, exec_lo
	s_mov_b32 s7, -1
	s_cbranch_scc0 .LBB0_532
; %bb.517:                              ;   in Loop: Header=BB0_370 Depth=2
	s_mov_b32 s8, exec_lo
	flat_store_b8 v[80:81], v21
	v_cmpx_ne_u32_e32 1, v131
	s_cbranch_execz .LBB0_519
; %bb.518:                              ;   in Loop: Header=BB0_370 Depth=2
	flat_store_b8 v[80:81], v83 offset:1
.LBB0_519:                              ;   in Loop: Header=BB0_370 Depth=2
	s_or_b32 exec_lo, exec_lo, s8
	s_delay_alu instid0(SALU_CYCLE_1)
	s_mov_b32 s8, exec_lo
	v_cmpx_lt_u32_e32 2, v131
	s_cbranch_execz .LBB0_521
; %bb.520:                              ;   in Loop: Header=BB0_370 Depth=2
	flat_store_b8 v[80:81], v84 offset:2
.LBB0_521:                              ;   in Loop: Header=BB0_370 Depth=2
	s_or_b32 exec_lo, exec_lo, s8
	s_delay_alu instid0(SALU_CYCLE_1)
	s_mov_b32 s8, exec_lo
	v_cmpx_lt_u32_e32 3, v131
	;; [unrolled: 8-line block ×4, first 2 shown]
	s_cbranch_execz .LBB0_527
; %bb.526:                              ;   in Loop: Header=BB0_370 Depth=2
	v_lshrrev_b32_e32 v20, 8, v98
	flat_store_b8 v[80:81], v20 offset:5
.LBB0_527:                              ;   in Loop: Header=BB0_370 Depth=2
	s_or_b32 exec_lo, exec_lo, s8
	s_delay_alu instid0(SALU_CYCLE_1)
	s_mov_b32 s8, exec_lo
	v_cmpx_lt_u32_e32 6, v131
	s_cbranch_execz .LBB0_529
; %bb.528:                              ;   in Loop: Header=BB0_370 Depth=2
	flat_store_d16_hi_b8 v[80:81], v19 offset:6
.LBB0_529:                              ;   in Loop: Header=BB0_370 Depth=2
	s_or_b32 exec_lo, exec_lo, s8
	s_and_saveexec_b32 s7, vcc_lo
	s_cbranch_execz .LBB0_531
; %bb.530:                              ;   in Loop: Header=BB0_370 Depth=2
	v_lshrrev_b32_e32 v20, 24, v19
	flat_store_b8 v[80:81], v20 offset:7
.LBB0_531:                              ;   in Loop: Header=BB0_370 Depth=2
	s_or_b32 exec_lo, exec_lo, s7
	s_mov_b32 s7, 0
.LBB0_532:                              ;   in Loop: Header=BB0_370 Depth=2
	s_delay_alu instid0(SALU_CYCLE_1)
	s_and_b32 vcc_lo, exec_lo, s7
	s_cbranch_vccz .LBB0_369
; %bb.533:                              ;   in Loop: Header=BB0_370 Depth=2
	v_perm_b32 v18, v18, v84, 0x6050400
	v_lshlrev_b32_e32 v20, 8, v83
	s_delay_alu instid0(VALU_DEP_2) | instskip(NEXT) | instid1(VALU_DEP_1)
	v_perm_b32 v18, v18, v21, 0x5040c00
	v_and_or_b32 v18, 0xff00, v20, v18
	global_store_b64 v[80:81], v[18:19], off
	s_branch .LBB0_369
.LBB0_534:                              ;   in Loop: Header=BB0_370 Depth=2
	s_mov_b32 s7, -1
	s_mov_b32 s19, exec_lo
                                        ; implicit-def: $sgpr8
	v_cmpx_eq_u16_e32 0x80, v19
; %bb.535:                              ;   in Loop: Header=BB0_370 Depth=2
	s_mov_b32 s8, 0x7f800001
	s_xor_b32 s7, exec_lo, -1
; %bb.536:                              ;   in Loop: Header=BB0_370 Depth=2
	s_or_b32 exec_lo, exec_lo, s19
	s_delay_alu instid0(SALU_CYCLE_1)
	s_and_b32 s7, s7, exec_lo
                                        ; implicit-def: $vgpr19
	s_or_saveexec_b32 s18, s18
	v_mov_b32_e32 v21, s8
	s_xor_b32 exec_lo, exec_lo, s18
	s_cbranch_execz .LBB0_390
.LBB0_537:                              ;   in Loop: Header=BB0_370 Depth=2
	v_cmp_ne_u16_e32 vcc_lo, 0, v19
	v_mov_b32_e32 v21, 0
	s_and_not1_b32 s7, s7, exec_lo
	s_and_b32 s8, vcc_lo, exec_lo
	s_delay_alu instid0(SALU_CYCLE_1)
	s_or_b32 s7, s7, s8
	s_or_b32 exec_lo, exec_lo, s18
	s_and_saveexec_b32 s8, s7
	s_cbranch_execnz .LBB0_391
	s_branch .LBB0_392
.LBB0_538:                              ;   in Loop: Header=BB0_370 Depth=2
	s_mov_b32 s7, -1
	s_mov_b32 s19, exec_lo
                                        ; implicit-def: $sgpr8
	v_cmpx_eq_u16_e32 0x80, v84
; %bb.539:                              ;   in Loop: Header=BB0_370 Depth=2
	s_mov_b32 s8, 0x7f800001
	s_xor_b32 s7, exec_lo, -1
; %bb.540:                              ;   in Loop: Header=BB0_370 Depth=2
	s_or_b32 exec_lo, exec_lo, s19
	s_delay_alu instid0(SALU_CYCLE_1)
	s_and_b32 s7, s7, exec_lo
                                        ; implicit-def: $vgpr84
	s_or_saveexec_b32 s18, s18
	v_mov_b32_e32 v83, s8
	s_xor_b32 exec_lo, exec_lo, s18
	s_cbranch_execz .LBB0_394
.LBB0_541:                              ;   in Loop: Header=BB0_370 Depth=2
	v_cmp_ne_u16_e32 vcc_lo, 0, v84
	v_mov_b32_e32 v83, 0
	s_and_not1_b32 s7, s7, exec_lo
	s_and_b32 s8, vcc_lo, exec_lo
	s_delay_alu instid0(SALU_CYCLE_1)
	s_or_b32 s7, s7, s8
	s_or_b32 exec_lo, exec_lo, s18
	s_and_saveexec_b32 s8, s7
	s_cbranch_execnz .LBB0_395
	s_branch .LBB0_396
.LBB0_542:                              ;   in Loop: Header=BB0_370 Depth=2
	s_mov_b32 s7, -1
	s_mov_b32 s19, exec_lo
                                        ; implicit-def: $sgpr8
	v_cmpx_eq_u16_e32 0x80, v84
; %bb.543:                              ;   in Loop: Header=BB0_370 Depth=2
	s_mov_b32 s8, 0x7f800001
	s_xor_b32 s7, exec_lo, -1
; %bb.544:                              ;   in Loop: Header=BB0_370 Depth=2
	s_or_b32 exec_lo, exec_lo, s19
	s_delay_alu instid0(SALU_CYCLE_1)
	s_and_b32 s7, s7, exec_lo
	s_or_saveexec_b32 s18, s18
	v_mov_b32_e32 v83, s8
	s_xor_b32 exec_lo, exec_lo, s18
	s_cbranch_execz .LBB0_406
.LBB0_545:                              ;   in Loop: Header=BB0_370 Depth=2
	v_cmp_ne_u16_e32 vcc_lo, 0, v84
	v_mov_b32_e32 v83, 0
	s_and_not1_b32 s7, s7, exec_lo
	s_and_b32 s8, vcc_lo, exec_lo
	s_delay_alu instid0(SALU_CYCLE_1)
	s_or_b32 s7, s7, s8
	s_or_b32 exec_lo, exec_lo, s18
	s_and_saveexec_b32 s8, s7
	s_cbranch_execnz .LBB0_407
	s_branch .LBB0_408
.LBB0_546:                              ;   in Loop: Header=BB0_370 Depth=2
	s_mov_b32 s7, -1
	s_mov_b32 s19, exec_lo
                                        ; implicit-def: $sgpr8
	v_cmpx_eq_u16_e32 0x80, v84
; %bb.547:                              ;   in Loop: Header=BB0_370 Depth=2
	s_mov_b32 s8, 0x7f800001
	s_xor_b32 s7, exec_lo, -1
; %bb.548:                              ;   in Loop: Header=BB0_370 Depth=2
	s_or_b32 exec_lo, exec_lo, s19
	s_delay_alu instid0(SALU_CYCLE_1)
	s_and_b32 s7, s7, exec_lo
	s_or_saveexec_b32 s18, s18
	v_mov_b32_e32 v132, s8
	s_xor_b32 exec_lo, exec_lo, s18
	s_cbranch_execz .LBB0_410
.LBB0_549:                              ;   in Loop: Header=BB0_370 Depth=2
	v_cmp_ne_u16_e32 vcc_lo, 0, v84
	v_mov_b32_e32 v132, 0
	s_and_not1_b32 s7, s7, exec_lo
	s_and_b32 s8, vcc_lo, exec_lo
	s_delay_alu instid0(SALU_CYCLE_1)
	s_or_b32 s7, s7, s8
	s_or_b32 exec_lo, exec_lo, s18
	s_and_saveexec_b32 s8, s7
	s_cbranch_execnz .LBB0_411
	s_branch .LBB0_412
.LBB0_550:                              ;   in Loop: Header=BB0_370 Depth=2
	s_mov_b32 s7, -1
	s_mov_b32 s19, exec_lo
                                        ; implicit-def: $sgpr8
	v_cmpx_eq_u16_e64 0x80, v133
; %bb.551:                              ;   in Loop: Header=BB0_370 Depth=2
	s_mov_b32 s8, 0x7f800001
	s_xor_b32 s7, exec_lo, -1
; %bb.552:                              ;   in Loop: Header=BB0_370 Depth=2
	s_or_b32 exec_lo, exec_lo, s19
	s_delay_alu instid0(SALU_CYCLE_1)
	s_and_b32 s7, s7, exec_lo
                                        ; implicit-def: $vgpr133
	s_or_saveexec_b32 s18, s18
	v_mov_b32_e32 v84, s8
	s_xor_b32 exec_lo, exec_lo, s18
	s_cbranch_execz .LBB0_422
.LBB0_553:                              ;   in Loop: Header=BB0_370 Depth=2
	v_cmp_ne_u16_e64 vcc_lo, 0, v133
	v_mov_b32_e32 v84, 0
	s_and_not1_b32 s7, s7, exec_lo
	s_delay_alu instid0(VALU_DEP_2) | instskip(NEXT) | instid1(SALU_CYCLE_1)
	s_and_b32 s8, vcc_lo, exec_lo
	s_or_b32 s7, s7, s8
	s_or_b32 exec_lo, exec_lo, s18
	s_and_saveexec_b32 s8, s7
	s_cbranch_execnz .LBB0_423
	s_branch .LBB0_424
.LBB0_554:                              ;   in Loop: Header=BB0_370 Depth=2
	s_mov_b32 s7, -1
	s_mov_b32 s19, exec_lo
                                        ; implicit-def: $sgpr8
	v_cmpx_eq_u16_e64 0x80, v134
; %bb.555:                              ;   in Loop: Header=BB0_370 Depth=2
	s_mov_b32 s8, 0x7f800001
	s_xor_b32 s7, exec_lo, -1
; %bb.556:                              ;   in Loop: Header=BB0_370 Depth=2
	s_or_b32 exec_lo, exec_lo, s19
	s_delay_alu instid0(SALU_CYCLE_1)
	s_and_b32 s7, s7, exec_lo
                                        ; implicit-def: $vgpr134
	s_or_saveexec_b32 s18, s18
	v_mov_b32_e32 v133, s8
	s_xor_b32 exec_lo, exec_lo, s18
	s_cbranch_execz .LBB0_426
.LBB0_557:                              ;   in Loop: Header=BB0_370 Depth=2
	v_cmp_ne_u16_e64 vcc_lo, 0, v134
	v_mov_b32_e32 v133, 0
	s_and_not1_b32 s7, s7, exec_lo
	s_delay_alu instid0(VALU_DEP_2) | instskip(NEXT) | instid1(SALU_CYCLE_1)
	s_and_b32 s8, vcc_lo, exec_lo
	s_or_b32 s7, s7, s8
	s_or_b32 exec_lo, exec_lo, s18
	s_and_saveexec_b32 s8, s7
	s_cbranch_execnz .LBB0_427
	s_branch .LBB0_428
.LBB0_558:                              ;   in Loop: Header=BB0_370 Depth=2
	s_mov_b32 s7, -1
	s_mov_b32 s19, exec_lo
                                        ; implicit-def: $sgpr8
	v_cmpx_eq_u16_e64 0x80, v133
; %bb.559:                              ;   in Loop: Header=BB0_370 Depth=2
	s_mov_b32 s8, 0x7f800001
	s_xor_b32 s7, exec_lo, -1
; %bb.560:                              ;   in Loop: Header=BB0_370 Depth=2
	s_or_b32 exec_lo, exec_lo, s19
	s_delay_alu instid0(SALU_CYCLE_1)
	s_and_b32 s7, s7, exec_lo
	s_or_saveexec_b32 s18, s18
	v_mov_b32_e32 v132, s8
	s_xor_b32 exec_lo, exec_lo, s18
	s_cbranch_execz .LBB0_438
.LBB0_561:                              ;   in Loop: Header=BB0_370 Depth=2
	v_cmp_ne_u16_e64 vcc_lo, 0, v133
	v_mov_b32_e32 v132, 0
	s_and_not1_b32 s7, s7, exec_lo
	s_delay_alu instid0(VALU_DEP_2) | instskip(NEXT) | instid1(SALU_CYCLE_1)
	s_and_b32 s8, vcc_lo, exec_lo
	s_or_b32 s7, s7, s8
	s_or_b32 exec_lo, exec_lo, s18
	s_and_saveexec_b32 s8, s7
	s_cbranch_execnz .LBB0_439
	s_branch .LBB0_440
.LBB0_562:                              ;   in Loop: Header=BB0_370 Depth=2
	s_mov_b32 s7, -1
	s_mov_b32 s19, exec_lo
                                        ; implicit-def: $sgpr8
	v_cmpx_eq_u16_e32 0x80, v18
; %bb.563:                              ;   in Loop: Header=BB0_370 Depth=2
	s_mov_b32 s8, 0x7f800001
	s_xor_b32 s7, exec_lo, -1
; %bb.564:                              ;   in Loop: Header=BB0_370 Depth=2
	s_or_b32 exec_lo, exec_lo, s19
	s_delay_alu instid0(SALU_CYCLE_1)
	s_and_b32 s7, s7, exec_lo
	s_or_saveexec_b32 s18, s18
	v_mov_b32_e32 v133, s8
	s_xor_b32 exec_lo, exec_lo, s18
	s_cbranch_execz .LBB0_442
.LBB0_565:                              ;   in Loop: Header=BB0_370 Depth=2
	v_cmp_ne_u16_e32 vcc_lo, 0, v18
	v_mov_b32_e32 v133, 0
	s_and_not1_b32 s7, s7, exec_lo
	s_and_b32 s8, vcc_lo, exec_lo
	s_delay_alu instid0(SALU_CYCLE_1)
	s_or_b32 s7, s7, s8
	s_or_b32 exec_lo, exec_lo, s18
	s_and_saveexec_b32 s8, s7
	s_cbranch_execnz .LBB0_443
	s_branch .LBB0_444
.LBB0_566:                              ;   in Loop: Header=BB0_370 Depth=2
	s_mov_b32 s7, -1
	s_mov_b32 s19, exec_lo
                                        ; implicit-def: $sgpr8
	v_cmpx_eq_u16_e32 0x80, v99
; %bb.567:                              ;   in Loop: Header=BB0_370 Depth=2
	s_mov_b32 s8, 0x7f800001
	s_xor_b32 s7, exec_lo, -1
; %bb.568:                              ;   in Loop: Header=BB0_370 Depth=2
	s_or_b32 exec_lo, exec_lo, s19
	s_delay_alu instid0(SALU_CYCLE_1)
	s_and_b32 s7, s7, exec_lo
                                        ; implicit-def: $vgpr99
	s_or_saveexec_b32 s18, s18
	v_mov_b32_e32 v132, s8
	s_xor_b32 exec_lo, exec_lo, s18
	s_cbranch_execz .LBB0_454
.LBB0_569:                              ;   in Loop: Header=BB0_370 Depth=2
	v_cmp_ne_u16_e32 vcc_lo, 0, v99
	v_mov_b32_e32 v132, 0
	s_and_not1_b32 s7, s7, exec_lo
	s_and_b32 s8, vcc_lo, exec_lo
	s_delay_alu instid0(SALU_CYCLE_1)
	s_or_b32 s7, s7, s8
	s_or_b32 exec_lo, exec_lo, s18
	s_and_saveexec_b32 s8, s7
	s_cbranch_execnz .LBB0_455
	s_branch .LBB0_456
.LBB0_570:                              ;   in Loop: Header=BB0_370 Depth=2
	s_mov_b32 s7, -1
	s_mov_b32 s19, exec_lo
                                        ; implicit-def: $sgpr8
	v_cmpx_eq_u16_e32 0x80, v98
; %bb.571:                              ;   in Loop: Header=BB0_370 Depth=2
	s_mov_b32 s8, 0x7f800001
	s_xor_b32 s7, exec_lo, -1
; %bb.572:                              ;   in Loop: Header=BB0_370 Depth=2
	s_or_b32 exec_lo, exec_lo, s19
	s_delay_alu instid0(SALU_CYCLE_1)
	s_and_b32 s7, s7, exec_lo
                                        ; implicit-def: $vgpr98
	s_or_saveexec_b32 s18, s18
	v_mov_b32_e32 v97, s8
	s_xor_b32 exec_lo, exec_lo, s18
	s_cbranch_execz .LBB0_458
.LBB0_573:                              ;   in Loop: Header=BB0_370 Depth=2
	v_cmp_ne_u16_e32 vcc_lo, 0, v98
	v_mov_b32_e32 v97, 0
	s_and_not1_b32 s7, s7, exec_lo
	s_and_b32 s8, vcc_lo, exec_lo
	s_delay_alu instid0(SALU_CYCLE_1)
	s_or_b32 s7, s7, s8
	s_or_b32 exec_lo, exec_lo, s18
	s_and_saveexec_b32 s8, s7
	s_cbranch_execnz .LBB0_459
	s_branch .LBB0_460
.LBB0_574:                              ;   in Loop: Header=BB0_370 Depth=2
	s_mov_b32 s7, -1
	s_mov_b32 s19, exec_lo
                                        ; implicit-def: $sgpr8
	v_cmpx_eq_u16_e32 0x80, v99
; %bb.575:                              ;   in Loop: Header=BB0_370 Depth=2
	s_mov_b32 s8, 0x7f800001
	s_xor_b32 s7, exec_lo, -1
; %bb.576:                              ;   in Loop: Header=BB0_370 Depth=2
	s_or_b32 exec_lo, exec_lo, s19
	s_delay_alu instid0(SALU_CYCLE_1)
	s_and_b32 s7, s7, exec_lo
	s_or_saveexec_b32 s18, s18
	v_mov_b32_e32 v98, s8
	s_xor_b32 exec_lo, exec_lo, s18
	s_cbranch_execz .LBB0_470
.LBB0_577:                              ;   in Loop: Header=BB0_370 Depth=2
	v_cmp_ne_u16_e32 vcc_lo, 0, v99
	v_mov_b32_e32 v98, 0
	s_and_not1_b32 s7, s7, exec_lo
	s_and_b32 s8, vcc_lo, exec_lo
	s_delay_alu instid0(SALU_CYCLE_1)
	s_or_b32 s7, s7, s8
	s_or_b32 exec_lo, exec_lo, s18
	s_and_saveexec_b32 s8, s7
	s_cbranch_execnz .LBB0_471
	s_branch .LBB0_472
.LBB0_578:                              ;   in Loop: Header=BB0_370 Depth=2
	s_mov_b32 s7, -1
	s_mov_b32 s19, exec_lo
                                        ; implicit-def: $sgpr8
	v_cmpx_eq_u16_e32 0x80, v99
; %bb.579:                              ;   in Loop: Header=BB0_370 Depth=2
	s_mov_b32 s8, 0x7f800001
	s_xor_b32 s7, exec_lo, -1
; %bb.580:                              ;   in Loop: Header=BB0_370 Depth=2
	s_or_b32 exec_lo, exec_lo, s19
	s_delay_alu instid0(SALU_CYCLE_1)
	s_and_b32 s7, s7, exec_lo
	s_or_saveexec_b32 s18, s18
	v_mov_b32_e32 v132, s8
	s_xor_b32 exec_lo, exec_lo, s18
	s_cbranch_execz .LBB0_474
.LBB0_581:                              ;   in Loop: Header=BB0_370 Depth=2
	v_cmp_ne_u16_e32 vcc_lo, 0, v99
	v_mov_b32_e32 v132, 0
	s_and_not1_b32 s7, s7, exec_lo
	s_and_b32 s8, vcc_lo, exec_lo
	s_delay_alu instid0(SALU_CYCLE_1)
	s_or_b32 s7, s7, s8
	s_or_b32 exec_lo, exec_lo, s18
	s_and_saveexec_b32 s8, s7
	s_cbranch_execnz .LBB0_475
	s_branch .LBB0_476
.LBB0_582:                              ;   in Loop: Header=BB0_370 Depth=2
	s_mov_b32 s7, -1
	s_mov_b32 s19, exec_lo
                                        ; implicit-def: $sgpr8
	v_cmpx_eq_u16_e64 0x80, v133
; %bb.583:                              ;   in Loop: Header=BB0_370 Depth=2
	s_mov_b32 s8, 0x7f800001
	s_xor_b32 s7, exec_lo, -1
; %bb.584:                              ;   in Loop: Header=BB0_370 Depth=2
	s_or_b32 exec_lo, exec_lo, s19
	s_delay_alu instid0(SALU_CYCLE_1)
	s_and_b32 s7, s7, exec_lo
                                        ; implicit-def: $vgpr133
	s_or_saveexec_b32 s18, s18
	v_mov_b32_e32 v99, s8
	s_xor_b32 exec_lo, exec_lo, s18
	s_cbranch_execz .LBB0_486
.LBB0_585:                              ;   in Loop: Header=BB0_370 Depth=2
	v_cmp_ne_u16_e64 vcc_lo, 0, v133
	v_mov_b32_e32 v99, 0
	s_and_not1_b32 s7, s7, exec_lo
	s_delay_alu instid0(VALU_DEP_2) | instskip(NEXT) | instid1(SALU_CYCLE_1)
	s_and_b32 s8, vcc_lo, exec_lo
	s_or_b32 s7, s7, s8
	s_or_b32 exec_lo, exec_lo, s18
	s_and_saveexec_b32 s8, s7
	s_cbranch_execnz .LBB0_487
	s_branch .LBB0_488
.LBB0_586:                              ;   in Loop: Header=BB0_370 Depth=2
	s_mov_b32 s7, -1
	s_mov_b32 s19, exec_lo
                                        ; implicit-def: $sgpr8
	v_cmpx_eq_u16_e64 0x80, v134
; %bb.587:                              ;   in Loop: Header=BB0_370 Depth=2
	s_mov_b32 s8, 0x7f800001
	s_xor_b32 s7, exec_lo, -1
; %bb.588:                              ;   in Loop: Header=BB0_370 Depth=2
	s_or_b32 exec_lo, exec_lo, s19
	s_delay_alu instid0(SALU_CYCLE_1)
	s_and_b32 s7, s7, exec_lo
                                        ; implicit-def: $vgpr134
	s_or_saveexec_b32 s18, s18
	v_mov_b32_e32 v133, s8
	s_xor_b32 exec_lo, exec_lo, s18
	s_cbranch_execz .LBB0_490
.LBB0_589:                              ;   in Loop: Header=BB0_370 Depth=2
	v_cmp_ne_u16_e64 vcc_lo, 0, v134
	v_mov_b32_e32 v133, 0
	s_and_not1_b32 s7, s7, exec_lo
	s_delay_alu instid0(VALU_DEP_2) | instskip(NEXT) | instid1(SALU_CYCLE_1)
	s_and_b32 s8, vcc_lo, exec_lo
	s_or_b32 s7, s7, s8
	s_or_b32 exec_lo, exec_lo, s18
	s_and_saveexec_b32 s8, s7
	s_cbranch_execnz .LBB0_491
	s_branch .LBB0_492
.LBB0_590:                              ;   in Loop: Header=BB0_370 Depth=2
	s_mov_b32 s7, -1
	s_mov_b32 s19, exec_lo
                                        ; implicit-def: $sgpr8
	v_cmpx_eq_u16_e64 0x80, v133
; %bb.591:                              ;   in Loop: Header=BB0_370 Depth=2
	s_mov_b32 s8, 0x7f800001
	s_xor_b32 s7, exec_lo, -1
; %bb.592:                              ;   in Loop: Header=BB0_370 Depth=2
	s_or_b32 exec_lo, exec_lo, s19
	s_delay_alu instid0(SALU_CYCLE_1)
	s_and_b32 s7, s7, exec_lo
	s_or_saveexec_b32 s18, s18
	v_mov_b32_e32 v132, s8
	s_xor_b32 exec_lo, exec_lo, s18
	s_cbranch_execz .LBB0_502
.LBB0_593:                              ;   in Loop: Header=BB0_370 Depth=2
	v_cmp_ne_u16_e64 vcc_lo, 0, v133
	v_mov_b32_e32 v132, 0
	s_and_not1_b32 s7, s7, exec_lo
	s_delay_alu instid0(VALU_DEP_2) | instskip(NEXT) | instid1(SALU_CYCLE_1)
	s_and_b32 s8, vcc_lo, exec_lo
	s_or_b32 s7, s7, s8
	s_or_b32 exec_lo, exec_lo, s18
	s_and_saveexec_b32 s8, s7
	s_cbranch_execnz .LBB0_503
	s_branch .LBB0_504
.LBB0_594:                              ;   in Loop: Header=BB0_370 Depth=2
	s_mov_b32 s7, -1
	s_mov_b32 s19, exec_lo
                                        ; implicit-def: $sgpr8
	v_cmpx_eq_u16_e32 0x80, v20
; %bb.595:                              ;   in Loop: Header=BB0_370 Depth=2
	s_mov_b32 s8, 0x7f800001
	s_xor_b32 s7, exec_lo, -1
; %bb.596:                              ;   in Loop: Header=BB0_370 Depth=2
	s_or_b32 exec_lo, exec_lo, s19
	s_delay_alu instid0(SALU_CYCLE_1)
	s_and_b32 s7, s7, exec_lo
	s_or_saveexec_b32 s18, s18
	v_mov_b32_e32 v133, s8
	s_xor_b32 exec_lo, exec_lo, s18
	s_cbranch_execz .LBB0_506
.LBB0_597:                              ;   in Loop: Header=BB0_370 Depth=2
	v_cmp_ne_u16_e32 vcc_lo, 0, v20
	v_mov_b32_e32 v133, 0
	s_and_not1_b32 s7, s7, exec_lo
	s_and_b32 s8, vcc_lo, exec_lo
	s_delay_alu instid0(SALU_CYCLE_1)
	s_or_b32 s7, s7, s8
	s_or_b32 exec_lo, exec_lo, s18
	s_and_saveexec_b32 s8, s7
	s_cbranch_execnz .LBB0_507
	s_branch .LBB0_508
.LBB0_598:                              ;   in Loop: Header=BB0_32 Depth=1
	s_or_b32 exec_lo, exec_lo, s17
.LBB0_599:                              ;   in Loop: Header=BB0_32 Depth=1
	s_delay_alu instid0(SALU_CYCLE_1)
	s_or_b32 exec_lo, exec_lo, s9
	s_and_saveexec_b32 s7, s3
	s_cbranch_execz .LBB0_621
; %bb.600:                              ;   in Loop: Header=BB0_32 Depth=1
	s_and_saveexec_b32 s8, s4
	s_delay_alu instid0(SALU_CYCLE_1)
	s_xor_b32 s8, exec_lo, s8
	s_cbranch_execz .LBB0_618
; %bb.601:                              ;   in Loop: Header=BB0_32 Depth=1
	s_and_saveexec_b32 s9, s5
	s_cbranch_execz .LBB0_617
; %bb.602:                              ;   in Loop: Header=BB0_32 Depth=1
	s_mov_b32 s18, exec_lo
	s_mov_b32 s17, exec_lo
	v_mbcnt_lo_u32_b32 v18, s18, 0
	s_waitcnt vmcnt(0) lgkmcnt(0)
	s_waitcnt_vscnt null, 0x0
	buffer_gl1_inv
	buffer_gl0_inv
	v_cmpx_eq_u32_e32 0, v18
	s_cbranch_execz .LBB0_604
; %bb.603:                              ;   in Loop: Header=BB0_32 Depth=1
	s_bcnt1_i32_b32 s18, s18
	s_delay_alu instid0(SALU_CYCLE_1)
	v_mov_b32_e32 v64, s18
	ds_add_u64 v0, v[64:65]
	s_cbranch_execnz .LBB0_690
.LBB0_604:                              ;   in Loop: Header=BB0_32 Depth=1
	s_or_b32 exec_lo, exec_lo, s17
	s_cbranch_execnz .LBB0_678
; %bb.605:                              ;   in Loop: Header=BB0_32 Depth=1
	ds_load_b64 v[18:19], v0
	v_add_co_u32 v2, vcc_lo, v2, v101
	v_add_co_ci_u32_e32 v3, vcc_lo, v3, v112, vcc_lo
	s_mov_b32 s17, exec_lo
	s_waitcnt lgkmcnt(0)
	s_delay_alu instid0(VALU_DEP_1)
	v_cmpx_lt_u64_e64 v[18:19], v[2:3]
	s_cbranch_execz .LBB0_616
; %bb.606:                              ;   in Loop: Header=BB0_32 Depth=1
	s_mov_b32 s18, 0
	s_mov_b32 s21, 0
                                        ; implicit-def: $sgpr19
                                        ; implicit-def: $sgpr20
	s_branch .LBB0_608
.LBB0_607:                              ;   in Loop: Header=BB0_608 Depth=2
	s_or_b32 exec_lo, exec_lo, s24
	s_delay_alu instid0(SALU_CYCLE_1) | instskip(NEXT) | instid1(SALU_CYCLE_1)
	s_and_b32 s22, exec_lo, s23
	s_or_b32 s18, s22, s18
	s_and_not1_b32 s19, s19, exec_lo
	s_and_b32 s22, s20, exec_lo
	s_delay_alu instid0(SALU_CYCLE_1)
	s_or_b32 s19, s19, s22
	s_and_not1_b32 exec_lo, exec_lo, s18
	s_cbranch_execz .LBB0_614
.LBB0_608:                              ;   Parent Loop BB0_32 Depth=1
                                        ; =>  This Inner Loop Header: Depth=2
	s_add_i32 s21, s21, 1
                                        ; implicit-def: $sgpr23
	s_delay_alu instid0(SALU_CYCLE_1) | instskip(SKIP_1) | instid1(SALU_CYCLE_1)
	s_cmpk_lg_i32 s21, 0x2710
	s_cselect_b32 s22, -1, 0
	s_and_b32 vcc_lo, exec_lo, s22
	s_cbranch_vccz .LBB0_612
.LBB0_609:                              ;   in Loop: Header=BB0_608 Depth=2
	s_and_not1_b32 s20, s20, exec_lo
	s_and_b32 s24, s23, exec_lo
	s_mov_b32 s23, -1
	s_or_b32 s20, s20, s24
	s_and_saveexec_b32 s24, s22
	s_cbranch_execz .LBB0_607
; %bb.610:                              ;   in Loop: Header=BB0_608 Depth=2
	s_sleep 1
	s_cbranch_execnz .LBB0_698
; %bb.611:                              ;   in Loop: Header=BB0_608 Depth=2
	ds_load_b64 v[18:19], v0
	s_and_not1_b32 s20, s20, exec_lo
	s_waitcnt lgkmcnt(0)
	v_cmp_ge_u64_e32 vcc_lo, v[18:19], v[2:3]
	s_or_not1_b32 s23, vcc_lo, exec_lo
	s_branch .LBB0_607
.LBB0_612:                              ;   in Loop: Header=BB0_608 Depth=2
	s_cbranch_execnz .LBB0_700
; %bb.613:                              ;   in Loop: Header=BB0_608 Depth=2
	ds_load_b64 v[18:19], v0
	s_and_not1_b32 s22, s22, exec_lo
	s_mov_b32 s21, 0
	s_mov_b32 s23, -1
	s_waitcnt lgkmcnt(0)
	flat_load_b32 v18, v[18:19] glc
	s_waitcnt vmcnt(0) lgkmcnt(0)
	buffer_gl1_inv
	buffer_gl0_inv
	v_cmp_eq_u32_e32 vcc_lo, 0, v18
	s_and_b32 s24, vcc_lo, exec_lo
	s_delay_alu instid0(SALU_CYCLE_1)
	s_or_b32 s22, s22, s24
	s_branch .LBB0_609
.LBB0_614:                              ;   in Loop: Header=BB0_32 Depth=1
	s_or_b32 exec_lo, exec_lo, s18
	s_and_saveexec_b32 s18, s19
	s_delay_alu instid0(SALU_CYCLE_1)
	s_xor_b32 s18, exec_lo, s18
	s_cbranch_execz .LBB0_616
; %bb.615:                              ;   in Loop: Header=BB0_32 Depth=1
	ds_store_b32 v0, v129
	s_cbranch_execnz .LBB0_717
.LBB0_616:                              ;   in Loop: Header=BB0_32 Depth=1
	s_or_b32 exec_lo, exec_lo, s17
	;;#ASMSTART
	s_wakeup
	;;#ASMEND
.LBB0_617:                              ;   in Loop: Header=BB0_32 Depth=1
	s_or_b32 exec_lo, exec_lo, s9
.LBB0_618:                              ;   in Loop: Header=BB0_32 Depth=1
	s_and_not1_saveexec_b32 s8, s8
	s_cbranch_execz .LBB0_620
; %bb.619:                              ;   in Loop: Header=BB0_32 Depth=1
	s_waitcnt vmcnt(0) lgkmcnt(0)
	s_waitcnt_vscnt null, 0x0
	buffer_gl1_inv
	buffer_gl0_inv
	s_barrier
.LBB0_620:                              ;   in Loop: Header=BB0_32 Depth=1
	s_or_b32 exec_lo, exec_lo, s8
.LBB0_621:                              ;   in Loop: Header=BB0_32 Depth=1
	s_delay_alu instid0(SALU_CYCLE_1)
	s_or_b32 exec_lo, exec_lo, s7
	s_and_saveexec_b32 s7, s6
	s_cbranch_execz .LBB0_623
; %bb.622:                              ;   in Loop: Header=BB0_32 Depth=1
	v_add_co_u32 v50, vcc_lo, v50, 1
	v_add_co_ci_u32_e32 v51, vcc_lo, 0, v51, vcc_lo
	s_waitcnt vmcnt(0) lgkmcnt(0)
	s_waitcnt_vscnt null, 0x0
	flat_store_b64 v[38:39], v[50:51]
.LBB0_623:                              ;   in Loop: Header=BB0_32 Depth=1
	s_or_b32 exec_lo, exec_lo, s7
	v_add_co_u32 v68, vcc_lo, v68, v66
	v_add_co_ci_u32_e32 v69, vcc_lo, 0, v69, vcc_lo
	v_add_co_u32 v34, vcc_lo, v34, 1
	v_add_co_ci_u32_e32 v35, vcc_lo, 0, v35, vcc_lo
	s_delay_alu instid0(VALU_DEP_3) | instskip(SKIP_1) | instid1(VALU_DEP_1)
	v_cmp_ge_u64_e32 vcc_lo, v[68:69], v[8:9]
	v_add_co_u32 v10, s7, v10, v66
	v_add_co_ci_u32_e64 v11, s7, 0, v11, s7
	s_or_b32 s15, vcc_lo, s15
	s_delay_alu instid0(SALU_CYCLE_1)
	s_and_not1_b32 exec_lo, exec_lo, s15
	s_cbranch_execnz .LBB0_32
; %bb.624:
	s_or_b32 exec_lo, exec_lo, s15
.LBB0_625:
	s_delay_alu instid0(SALU_CYCLE_1)
	s_or_b32 exec_lo, exec_lo, s13
	s_and_saveexec_b32 s1, s12
	s_cbranch_execz .LBB0_627
; %bb.626:
	s_waitcnt vmcnt(0) lgkmcnt(0)
	flat_store_b64 v[28:29], v[50:51] offset:104
.LBB0_627:
	s_or_b32 exec_lo, exec_lo, s1
	s_and_saveexec_b32 s1, s0
	s_cbranch_execz .LBB0_629
; %bb.628:
	s_waitcnt vmcnt(0) lgkmcnt(0)
	flat_store_b64 v[36:37], v[16:17] offset:104
.LBB0_629:
	s_or_b32 exec_lo, exec_lo, s1
	s_delay_alu instid0(SALU_CYCLE_1)
	s_mov_b32 s0, exec_lo
	v_cmpx_ne_u32_e32 32, v1
	s_cbranch_execz .LBB0_708
; %bb.630:
	s_mov_b32 s1, exec_lo
	v_cmpx_ne_u32_e64 v0, v1
	s_xor_b32 s1, exec_lo, s1
	s_cbranch_execz .LBB0_706
; %bb.631:
	v_and_b32_e32 v0, 31, v31
	s_mov_b32 s2, exec_lo
	s_delay_alu instid0(VALU_DEP_1)
	v_cmpx_eq_u32_e32 0, v0
	s_cbranch_execz .LBB0_705
; %bb.632:
	s_mov_b32 s4, exec_lo
	s_mov_b32 s3, exec_lo
	v_mbcnt_lo_u32_b32 v0, s4, 0
	s_waitcnt vmcnt(0) lgkmcnt(0)
	s_waitcnt_vscnt null, 0x0
	buffer_gl1_inv
	buffer_gl0_inv
	v_cmpx_eq_u32_e32 0, v0
	s_cbranch_execz .LBB0_634
; %bb.633:
	s_bcnt1_i32_b32 s4, s4
	s_delay_alu instid0(SALU_CYCLE_1)
	v_dual_mov_b32 v5, 0 :: v_dual_mov_b32 v4, s4
	ds_add_u64 v0, v[4:5]
	s_cbranch_execnz .LBB0_666
.LBB0_634:
	s_or_b32 exec_lo, exec_lo, s3
	s_cbranch_execnz .LBB0_651
; %bb.635:
	v_ashrrev_i32_e32 v0, 31, v1
	s_mov_b32 s3, exec_lo
	s_delay_alu instid0(VALU_DEP_1) | instskip(NEXT) | instid1(VALU_DEP_1)
	v_lshrrev_b32_e32 v0, 27, v0
	v_add_nc_u32_e32 v0, v1, v0
	ds_load_b64 v[4:5], v0
	v_ashrrev_i32_e32 v0, 5, v0
	s_delay_alu instid0(VALU_DEP_1) | instskip(SKIP_1) | instid1(VALU_DEP_2)
	v_ashrrev_i32_e32 v1, 31, v0
	v_add_co_u32 v0, vcc_lo, v2, v0
	v_add_co_ci_u32_e32 v1, vcc_lo, v3, v1, vcc_lo
	s_waitcnt lgkmcnt(0)
	s_delay_alu instid0(VALU_DEP_1)
	v_cmpx_lt_u64_e64 v[4:5], v[0:1]
	s_cbranch_execz .LBB0_704
; %bb.636:
	s_mov_b32 s4, 0
	s_mov_b32 s7, 0
                                        ; implicit-def: $sgpr5
                                        ; implicit-def: $sgpr6
	s_branch .LBB0_656
.LBB0_637:
	s_trap 2
	s_sendmsg_rtn_b32 s0, sendmsg(MSG_RTN_GET_DOORBELL)
	s_mov_b32 ttmp2, m0
	s_waitcnt lgkmcnt(0)
	s_and_b32 s0, s0, 0x3ff
	s_delay_alu instid0(SALU_CYCLE_1) | instskip(NEXT) | instid1(SALU_CYCLE_1)
	s_bitset1_b32 s0, 10
	s_mov_b32 m0, s0
	s_sendmsg sendmsg(MSG_INTERRUPT)
	s_mov_b32 m0, ttmp2
.LBB0_638:                              ; =>This Inner Loop Header: Depth=1
	s_sethalt 5
	s_branch .LBB0_638
.LBB0_639:
	s_trap 2
	s_sendmsg_rtn_b32 s0, sendmsg(MSG_RTN_GET_DOORBELL)
	s_mov_b32 ttmp2, m0
	s_waitcnt lgkmcnt(0)
	s_and_b32 s0, s0, 0x3ff
	s_delay_alu instid0(SALU_CYCLE_1) | instskip(NEXT) | instid1(SALU_CYCLE_1)
	s_bitset1_b32 s0, 10
	s_mov_b32 m0, s0
	s_sendmsg sendmsg(MSG_INTERRUPT)
	s_mov_b32 m0, ttmp2
.LBB0_640:                              ; =>This Inner Loop Header: Depth=1
	s_sethalt 5
	s_branch .LBB0_640
.LBB0_641:
	s_trap 2
	s_sendmsg_rtn_b32 s0, sendmsg(MSG_RTN_GET_DOORBELL)
	s_mov_b32 ttmp2, m0
	s_waitcnt lgkmcnt(0)
	s_and_b32 s0, s0, 0x3ff
	s_delay_alu instid0(SALU_CYCLE_1) | instskip(NEXT) | instid1(SALU_CYCLE_1)
	s_bitset1_b32 s0, 10
	s_mov_b32 m0, s0
	s_sendmsg sendmsg(MSG_INTERRUPT)
	s_mov_b32 m0, ttmp2
.LBB0_642:                              ; =>This Inner Loop Header: Depth=1
	s_sethalt 5
	s_branch .LBB0_642
.LBB0_643:
	s_trap 2
	s_sendmsg_rtn_b32 s0, sendmsg(MSG_RTN_GET_DOORBELL)
	s_mov_b32 ttmp2, m0
	s_waitcnt lgkmcnt(0)
	s_and_b32 s0, s0, 0x3ff
	s_delay_alu instid0(SALU_CYCLE_1) | instskip(NEXT) | instid1(SALU_CYCLE_1)
	s_bitset1_b32 s0, 10
	s_mov_b32 m0, s0
	s_sendmsg sendmsg(MSG_INTERRUPT)
	s_mov_b32 m0, ttmp2
.LBB0_644:                              ; =>This Inner Loop Header: Depth=1
	s_sethalt 5
	s_branch .LBB0_644
.LBB0_645:
	s_trap 2
	s_sendmsg_rtn_b32 s0, sendmsg(MSG_RTN_GET_DOORBELL)
	s_mov_b32 ttmp2, m0
	s_waitcnt lgkmcnt(0)
	s_and_b32 s0, s0, 0x3ff
	s_delay_alu instid0(SALU_CYCLE_1) | instskip(NEXT) | instid1(SALU_CYCLE_1)
	s_bitset1_b32 s0, 10
	s_mov_b32 m0, s0
	s_sendmsg sendmsg(MSG_INTERRUPT)
	s_mov_b32 m0, ttmp2
.LBB0_646:                              ; =>This Inner Loop Header: Depth=1
	s_sethalt 5
	s_branch .LBB0_646
.LBB0_647:
	s_trap 2
	s_sendmsg_rtn_b32 s0, sendmsg(MSG_RTN_GET_DOORBELL)
	s_mov_b32 ttmp2, m0
	s_waitcnt lgkmcnt(0)
	s_and_b32 s0, s0, 0x3ff
	s_delay_alu instid0(SALU_CYCLE_1) | instskip(NEXT) | instid1(SALU_CYCLE_1)
	s_bitset1_b32 s0, 10
	s_mov_b32 m0, s0
	s_sendmsg sendmsg(MSG_INTERRUPT)
	s_mov_b32 m0, ttmp2
.LBB0_648:                              ; =>This Inner Loop Header: Depth=1
	s_sethalt 5
	s_branch .LBB0_648
.LBB0_649:
	s_trap 2
	s_sendmsg_rtn_b32 s0, sendmsg(MSG_RTN_GET_DOORBELL)
	s_mov_b32 ttmp2, m0
	s_waitcnt lgkmcnt(0)
	s_and_b32 s0, s0, 0x3ff
	s_delay_alu instid0(SALU_CYCLE_1) | instskip(NEXT) | instid1(SALU_CYCLE_1)
	s_bitset1_b32 s0, 10
	s_mov_b32 m0, s0
	s_sendmsg sendmsg(MSG_INTERRUPT)
	s_mov_b32 m0, ttmp2
.LBB0_650:                              ; =>This Inner Loop Header: Depth=1
	s_sethalt 5
	s_branch .LBB0_650
.LBB0_651:
	s_trap 2
	s_sendmsg_rtn_b32 s0, sendmsg(MSG_RTN_GET_DOORBELL)
	s_mov_b32 ttmp2, m0
	s_waitcnt lgkmcnt(0)
	s_and_b32 s0, s0, 0x3ff
	s_delay_alu instid0(SALU_CYCLE_1) | instskip(NEXT) | instid1(SALU_CYCLE_1)
	s_bitset1_b32 s0, 10
	s_mov_b32 m0, s0
	s_sendmsg sendmsg(MSG_INTERRUPT)
	s_mov_b32 m0, ttmp2
.LBB0_652:                              ; =>This Inner Loop Header: Depth=1
	s_sethalt 5
	s_branch .LBB0_652
.LBB0_653:
	s_trap 2
	s_sendmsg_rtn_b32 s0, sendmsg(MSG_RTN_GET_DOORBELL)
	s_mov_b32 ttmp2, m0
	s_waitcnt lgkmcnt(0)
	s_and_b32 s0, s0, 0x3ff
	s_delay_alu instid0(SALU_CYCLE_1) | instskip(NEXT) | instid1(SALU_CYCLE_1)
	s_bitset1_b32 s0, 10
	s_mov_b32 m0, s0
	s_sendmsg sendmsg(MSG_INTERRUPT)
	s_mov_b32 m0, ttmp2
.LBB0_654:                              ; =>This Inner Loop Header: Depth=1
	s_sethalt 5
	s_branch .LBB0_654
.LBB0_655:                              ;   in Loop: Header=BB0_656 Depth=1
	s_or_b32 exec_lo, exec_lo, s10
	s_delay_alu instid0(SALU_CYCLE_1) | instskip(NEXT) | instid1(SALU_CYCLE_1)
	s_and_b32 s8, exec_lo, s9
	s_or_b32 s4, s8, s4
	s_and_not1_b32 s5, s5, exec_lo
	s_and_b32 s8, s6, exec_lo
	s_delay_alu instid0(SALU_CYCLE_1)
	s_or_b32 s5, s5, s8
	s_and_not1_b32 exec_lo, exec_lo, s4
	s_cbranch_execz .LBB0_702
.LBB0_656:                              ; =>This Inner Loop Header: Depth=1
	s_add_i32 s7, s7, 1
                                        ; implicit-def: $sgpr9
	s_delay_alu instid0(SALU_CYCLE_1) | instskip(SKIP_1) | instid1(SALU_CYCLE_1)
	s_cmpk_lg_i32 s7, 0x2710
	s_cselect_b32 s8, -1, 0
	s_and_b32 vcc_lo, exec_lo, s8
	s_cbranch_vccz .LBB0_660
.LBB0_657:                              ;   in Loop: Header=BB0_656 Depth=1
	s_and_not1_b32 s6, s6, exec_lo
	s_and_b32 s10, s9, exec_lo
	s_mov_b32 s9, -1
	s_or_b32 s6, s6, s10
	s_and_saveexec_b32 s10, s8
	s_cbranch_execz .LBB0_655
; %bb.658:                              ;   in Loop: Header=BB0_656 Depth=1
	s_sleep 1
	s_cbranch_execnz .LBB0_680
; %bb.659:                              ;   in Loop: Header=BB0_656 Depth=1
	ds_load_b64 v[2:3], v0
	s_and_not1_b32 s6, s6, exec_lo
	s_waitcnt lgkmcnt(0)
	v_cmp_ge_u64_e32 vcc_lo, v[2:3], v[0:1]
	s_or_not1_b32 s9, vcc_lo, exec_lo
	s_branch .LBB0_655
.LBB0_660:                              ;   in Loop: Header=BB0_656 Depth=1
	s_cbranch_execnz .LBB0_686
; %bb.661:                              ;   in Loop: Header=BB0_656 Depth=1
	ds_load_b64 v[2:3], v0
	s_and_not1_b32 s8, s8, exec_lo
	s_mov_b32 s7, 0
	s_mov_b32 s9, -1
	s_waitcnt lgkmcnt(0)
	flat_load_b32 v2, v[2:3] glc
	s_waitcnt vmcnt(0) lgkmcnt(0)
	buffer_gl1_inv
	buffer_gl0_inv
	v_cmp_eq_u32_e32 vcc_lo, 0, v2
	s_and_b32 s10, vcc_lo, exec_lo
	s_delay_alu instid0(SALU_CYCLE_1)
	s_or_b32 s8, s8, s10
	s_branch .LBB0_657
.LBB0_662:
	s_trap 2
	s_sendmsg_rtn_b32 s0, sendmsg(MSG_RTN_GET_DOORBELL)
	s_mov_b32 ttmp2, m0
	s_waitcnt lgkmcnt(0)
	s_and_b32 s0, s0, 0x3ff
	s_delay_alu instid0(SALU_CYCLE_1) | instskip(NEXT) | instid1(SALU_CYCLE_1)
	s_bitset1_b32 s0, 10
	s_mov_b32 m0, s0
	s_sendmsg sendmsg(MSG_INTERRUPT)
	s_mov_b32 m0, ttmp2
.LBB0_663:                              ; =>This Inner Loop Header: Depth=1
	s_sethalt 5
	s_branch .LBB0_663
.LBB0_664:
	s_trap 2
	s_sendmsg_rtn_b32 s0, sendmsg(MSG_RTN_GET_DOORBELL)
	s_mov_b32 ttmp2, m0
	s_waitcnt lgkmcnt(0)
	s_and_b32 s0, s0, 0x3ff
	s_delay_alu instid0(SALU_CYCLE_1) | instskip(NEXT) | instid1(SALU_CYCLE_1)
	s_bitset1_b32 s0, 10
	s_mov_b32 m0, s0
	s_sendmsg sendmsg(MSG_INTERRUPT)
	s_mov_b32 m0, ttmp2
.LBB0_665:                              ; =>This Inner Loop Header: Depth=1
	s_sethalt 5
	s_branch .LBB0_665
.LBB0_666:
	s_trap 2
	s_sendmsg_rtn_b32 s0, sendmsg(MSG_RTN_GET_DOORBELL)
	s_mov_b32 ttmp2, m0
	s_waitcnt lgkmcnt(0)
	s_and_b32 s0, s0, 0x3ff
	s_delay_alu instid0(SALU_CYCLE_1) | instskip(NEXT) | instid1(SALU_CYCLE_1)
	s_bitset1_b32 s0, 10
	s_mov_b32 m0, s0
	s_sendmsg sendmsg(MSG_INTERRUPT)
	s_mov_b32 m0, ttmp2
.LBB0_667:                              ; =>This Inner Loop Header: Depth=1
	s_sethalt 5
	s_branch .LBB0_667
.LBB0_668:
	s_trap 2
	s_sendmsg_rtn_b32 s0, sendmsg(MSG_RTN_GET_DOORBELL)
	s_mov_b32 ttmp2, m0
	s_waitcnt lgkmcnt(0)
	s_and_b32 s0, s0, 0x3ff
	s_delay_alu instid0(SALU_CYCLE_1) | instskip(NEXT) | instid1(SALU_CYCLE_1)
	s_bitset1_b32 s0, 10
	s_mov_b32 m0, s0
	s_sendmsg sendmsg(MSG_INTERRUPT)
	s_mov_b32 m0, ttmp2
.LBB0_669:                              ; =>This Inner Loop Header: Depth=1
	s_sethalt 5
	s_branch .LBB0_669
.LBB0_670:
	s_trap 2
	s_sendmsg_rtn_b32 s0, sendmsg(MSG_RTN_GET_DOORBELL)
	s_mov_b32 ttmp2, m0
	s_waitcnt lgkmcnt(0)
	s_and_b32 s0, s0, 0x3ff
	s_delay_alu instid0(SALU_CYCLE_1) | instskip(NEXT) | instid1(SALU_CYCLE_1)
	s_bitset1_b32 s0, 10
	s_mov_b32 m0, s0
	s_sendmsg sendmsg(MSG_INTERRUPT)
	s_mov_b32 m0, ttmp2
.LBB0_671:                              ; =>This Inner Loop Header: Depth=1
	s_sethalt 5
	s_branch .LBB0_671
.LBB0_672:
	s_trap 2
	s_sendmsg_rtn_b32 s0, sendmsg(MSG_RTN_GET_DOORBELL)
	s_mov_b32 ttmp2, m0
	s_waitcnt lgkmcnt(0)
	s_and_b32 s0, s0, 0x3ff
	s_delay_alu instid0(SALU_CYCLE_1) | instskip(NEXT) | instid1(SALU_CYCLE_1)
	s_bitset1_b32 s0, 10
	s_mov_b32 m0, s0
	s_sendmsg sendmsg(MSG_INTERRUPT)
	s_mov_b32 m0, ttmp2
.LBB0_673:                              ; =>This Inner Loop Header: Depth=1
	s_sethalt 5
	s_branch .LBB0_673
.LBB0_674:
	s_trap 2
	s_sendmsg_rtn_b32 s0, sendmsg(MSG_RTN_GET_DOORBELL)
	s_mov_b32 ttmp2, m0
	s_waitcnt lgkmcnt(0)
	s_and_b32 s0, s0, 0x3ff
	s_delay_alu instid0(SALU_CYCLE_1) | instskip(NEXT) | instid1(SALU_CYCLE_1)
	s_bitset1_b32 s0, 10
	s_mov_b32 m0, s0
	s_sendmsg sendmsg(MSG_INTERRUPT)
	s_mov_b32 m0, ttmp2
.LBB0_675:                              ; =>This Inner Loop Header: Depth=1
	s_sethalt 5
	s_branch .LBB0_675
.LBB0_676:
	s_trap 2
	s_sendmsg_rtn_b32 s0, sendmsg(MSG_RTN_GET_DOORBELL)
	s_mov_b32 ttmp2, m0
	s_waitcnt lgkmcnt(0)
	s_and_b32 s0, s0, 0x3ff
	s_delay_alu instid0(SALU_CYCLE_1) | instskip(NEXT) | instid1(SALU_CYCLE_1)
	s_bitset1_b32 s0, 10
	s_mov_b32 m0, s0
	s_sendmsg sendmsg(MSG_INTERRUPT)
	s_mov_b32 m0, ttmp2
.LBB0_677:                              ; =>This Inner Loop Header: Depth=1
	s_sethalt 5
	s_branch .LBB0_677
.LBB0_678:
	s_trap 2
	s_sendmsg_rtn_b32 s0, sendmsg(MSG_RTN_GET_DOORBELL)
	s_mov_b32 ttmp2, m0
	s_waitcnt lgkmcnt(0)
	s_and_b32 s0, s0, 0x3ff
	s_delay_alu instid0(SALU_CYCLE_1) | instskip(NEXT) | instid1(SALU_CYCLE_1)
	s_bitset1_b32 s0, 10
	s_mov_b32 m0, s0
	s_sendmsg sendmsg(MSG_INTERRUPT)
	s_mov_b32 m0, ttmp2
.LBB0_679:                              ; =>This Inner Loop Header: Depth=1
	s_sethalt 5
	s_branch .LBB0_679
.LBB0_680:
	s_trap 2
	s_sendmsg_rtn_b32 s0, sendmsg(MSG_RTN_GET_DOORBELL)
	s_mov_b32 ttmp2, m0
	s_waitcnt lgkmcnt(0)
	s_and_b32 s0, s0, 0x3ff
	s_delay_alu instid0(SALU_CYCLE_1) | instskip(NEXT) | instid1(SALU_CYCLE_1)
	s_bitset1_b32 s0, 10
	s_mov_b32 m0, s0
	s_sendmsg sendmsg(MSG_INTERRUPT)
	s_mov_b32 m0, ttmp2
.LBB0_681:                              ; =>This Inner Loop Header: Depth=1
	s_sethalt 5
	s_branch .LBB0_681
.LBB0_682:
	s_trap 2
	s_sendmsg_rtn_b32 s0, sendmsg(MSG_RTN_GET_DOORBELL)
	s_mov_b32 ttmp2, m0
	s_waitcnt lgkmcnt(0)
	s_and_b32 s0, s0, 0x3ff
	s_delay_alu instid0(SALU_CYCLE_1) | instskip(NEXT) | instid1(SALU_CYCLE_1)
	s_bitset1_b32 s0, 10
	s_mov_b32 m0, s0
	s_sendmsg sendmsg(MSG_INTERRUPT)
	s_mov_b32 m0, ttmp2
.LBB0_683:                              ; =>This Inner Loop Header: Depth=1
	s_sethalt 5
	s_branch .LBB0_683
.LBB0_684:
	s_trap 2
	s_sendmsg_rtn_b32 s0, sendmsg(MSG_RTN_GET_DOORBELL)
	s_mov_b32 ttmp2, m0
	s_waitcnt lgkmcnt(0)
	s_and_b32 s0, s0, 0x3ff
	s_delay_alu instid0(SALU_CYCLE_1) | instskip(NEXT) | instid1(SALU_CYCLE_1)
	s_bitset1_b32 s0, 10
	s_mov_b32 m0, s0
	s_sendmsg sendmsg(MSG_INTERRUPT)
	s_mov_b32 m0, ttmp2
.LBB0_685:                              ; =>This Inner Loop Header: Depth=1
	s_sethalt 5
	s_branch .LBB0_685
.LBB0_686:
	s_trap 2
	s_sendmsg_rtn_b32 s0, sendmsg(MSG_RTN_GET_DOORBELL)
	s_mov_b32 ttmp2, m0
	s_waitcnt lgkmcnt(0)
	s_and_b32 s0, s0, 0x3ff
	s_delay_alu instid0(SALU_CYCLE_1) | instskip(NEXT) | instid1(SALU_CYCLE_1)
	s_bitset1_b32 s0, 10
	s_mov_b32 m0, s0
	s_sendmsg sendmsg(MSG_INTERRUPT)
	s_mov_b32 m0, ttmp2
.LBB0_687:                              ; =>This Inner Loop Header: Depth=1
	s_sethalt 5
	s_branch .LBB0_687
.LBB0_688:
	s_trap 2
	s_sendmsg_rtn_b32 s0, sendmsg(MSG_RTN_GET_DOORBELL)
	s_mov_b32 ttmp2, m0
	s_waitcnt lgkmcnt(0)
	s_and_b32 s0, s0, 0x3ff
	s_delay_alu instid0(SALU_CYCLE_1) | instskip(NEXT) | instid1(SALU_CYCLE_1)
	s_bitset1_b32 s0, 10
	s_mov_b32 m0, s0
	s_sendmsg sendmsg(MSG_INTERRUPT)
	s_mov_b32 m0, ttmp2
.LBB0_689:                              ; =>This Inner Loop Header: Depth=1
	s_sethalt 5
	s_branch .LBB0_689
.LBB0_690:
	s_trap 2
	s_sendmsg_rtn_b32 s0, sendmsg(MSG_RTN_GET_DOORBELL)
	s_mov_b32 ttmp2, m0
	s_waitcnt lgkmcnt(0)
	s_and_b32 s0, s0, 0x3ff
	s_delay_alu instid0(SALU_CYCLE_1) | instskip(NEXT) | instid1(SALU_CYCLE_1)
	s_bitset1_b32 s0, 10
	s_mov_b32 m0, s0
	s_sendmsg sendmsg(MSG_INTERRUPT)
	s_mov_b32 m0, ttmp2
.LBB0_691:                              ; =>This Inner Loop Header: Depth=1
	s_sethalt 5
	s_branch .LBB0_691
.LBB0_692:
	s_trap 2
	s_sendmsg_rtn_b32 s0, sendmsg(MSG_RTN_GET_DOORBELL)
	s_mov_b32 ttmp2, m0
	s_waitcnt lgkmcnt(0)
	s_and_b32 s0, s0, 0x3ff
	s_delay_alu instid0(SALU_CYCLE_1) | instskip(NEXT) | instid1(SALU_CYCLE_1)
	s_bitset1_b32 s0, 10
	s_mov_b32 m0, s0
	s_sendmsg sendmsg(MSG_INTERRUPT)
	s_mov_b32 m0, ttmp2
.LBB0_693:                              ; =>This Inner Loop Header: Depth=1
	s_sethalt 5
	s_branch .LBB0_693
.LBB0_694:
	s_trap 2
	s_sendmsg_rtn_b32 s0, sendmsg(MSG_RTN_GET_DOORBELL)
	s_mov_b32 ttmp2, m0
	s_waitcnt lgkmcnt(0)
	s_and_b32 s0, s0, 0x3ff
	s_delay_alu instid0(SALU_CYCLE_1) | instskip(NEXT) | instid1(SALU_CYCLE_1)
	s_bitset1_b32 s0, 10
	s_mov_b32 m0, s0
	s_sendmsg sendmsg(MSG_INTERRUPT)
	s_mov_b32 m0, ttmp2
.LBB0_695:                              ; =>This Inner Loop Header: Depth=1
	s_sethalt 5
	s_branch .LBB0_695
.LBB0_696:
	s_trap 2
	s_sendmsg_rtn_b32 s0, sendmsg(MSG_RTN_GET_DOORBELL)
	s_mov_b32 ttmp2, m0
	s_waitcnt lgkmcnt(0)
	s_and_b32 s0, s0, 0x3ff
	s_delay_alu instid0(SALU_CYCLE_1) | instskip(NEXT) | instid1(SALU_CYCLE_1)
	s_bitset1_b32 s0, 10
	s_mov_b32 m0, s0
	s_sendmsg sendmsg(MSG_INTERRUPT)
	s_mov_b32 m0, ttmp2
.LBB0_697:                              ; =>This Inner Loop Header: Depth=1
	s_sethalt 5
	s_branch .LBB0_697
.LBB0_698:
	s_trap 2
	s_sendmsg_rtn_b32 s0, sendmsg(MSG_RTN_GET_DOORBELL)
	s_mov_b32 ttmp2, m0
	s_waitcnt lgkmcnt(0)
	s_and_b32 s0, s0, 0x3ff
	s_delay_alu instid0(SALU_CYCLE_1) | instskip(NEXT) | instid1(SALU_CYCLE_1)
	s_bitset1_b32 s0, 10
	s_mov_b32 m0, s0
	s_sendmsg sendmsg(MSG_INTERRUPT)
	s_mov_b32 m0, ttmp2
.LBB0_699:                              ; =>This Inner Loop Header: Depth=1
	s_sethalt 5
	s_branch .LBB0_699
.LBB0_700:
	s_trap 2
	s_sendmsg_rtn_b32 s0, sendmsg(MSG_RTN_GET_DOORBELL)
	s_mov_b32 ttmp2, m0
	s_waitcnt lgkmcnt(0)
	s_and_b32 s0, s0, 0x3ff
	s_delay_alu instid0(SALU_CYCLE_1) | instskip(NEXT) | instid1(SALU_CYCLE_1)
	s_bitset1_b32 s0, 10
	s_mov_b32 m0, s0
	s_sendmsg sendmsg(MSG_INTERRUPT)
	s_mov_b32 m0, ttmp2
.LBB0_701:                              ; =>This Inner Loop Header: Depth=1
	s_sethalt 5
	s_branch .LBB0_701
.LBB0_702:
	s_or_b32 exec_lo, exec_lo, s4
	s_and_saveexec_b32 s4, s5
	s_delay_alu instid0(SALU_CYCLE_1)
	s_xor_b32 s4, exec_lo, s4
	s_cbranch_execz .LBB0_704
; %bb.703:
	v_mov_b32_e32 v0, 1
	ds_store_b32 v0, v0
	s_cbranch_execnz .LBB0_711
.LBB0_704:
	s_or_b32 exec_lo, exec_lo, s3
	;;#ASMSTART
	s_wakeup
	;;#ASMEND
.LBB0_705:
	s_or_b32 exec_lo, exec_lo, s2
.LBB0_706:
	s_and_not1_saveexec_b32 s1, s1
	s_cbranch_execz .LBB0_708
; %bb.707:
	s_waitcnt vmcnt(0) lgkmcnt(0)
	s_waitcnt_vscnt null, 0x0
	buffer_gl1_inv
	buffer_gl0_inv
	s_barrier
.LBB0_708:
	s_or_b32 exec_lo, exec_lo, s0
	s_waitcnt vmcnt(0) lgkmcnt(0)
	s_setpc_b64 s[30:31]
.LBB0_709:
	s_trap 2
	s_sendmsg_rtn_b32 s0, sendmsg(MSG_RTN_GET_DOORBELL)
	s_mov_b32 ttmp2, m0
	s_waitcnt lgkmcnt(0)
	s_and_b32 s0, s0, 0x3ff
	s_delay_alu instid0(SALU_CYCLE_1) | instskip(NEXT) | instid1(SALU_CYCLE_1)
	s_bitset1_b32 s0, 10
	s_mov_b32 m0, s0
	s_sendmsg sendmsg(MSG_INTERRUPT)
	s_mov_b32 m0, ttmp2
.LBB0_710:                              ; =>This Inner Loop Header: Depth=1
	s_sethalt 5
	s_branch .LBB0_710
.LBB0_711:
	s_trap 2
	s_sendmsg_rtn_b32 s0, sendmsg(MSG_RTN_GET_DOORBELL)
	s_mov_b32 ttmp2, m0
	s_waitcnt lgkmcnt(0)
	s_and_b32 s0, s0, 0x3ff
	s_delay_alu instid0(SALU_CYCLE_1) | instskip(NEXT) | instid1(SALU_CYCLE_1)
	s_bitset1_b32 s0, 10
	s_mov_b32 m0, s0
	s_sendmsg sendmsg(MSG_INTERRUPT)
	s_mov_b32 m0, ttmp2
.LBB0_712:                              ; =>This Inner Loop Header: Depth=1
	s_sethalt 5
	s_branch .LBB0_712
.LBB0_713:
	s_trap 2
	s_sendmsg_rtn_b32 s0, sendmsg(MSG_RTN_GET_DOORBELL)
	s_mov_b32 ttmp2, m0
	s_waitcnt lgkmcnt(0)
	s_and_b32 s0, s0, 0x3ff
	s_delay_alu instid0(SALU_CYCLE_1) | instskip(NEXT) | instid1(SALU_CYCLE_1)
	s_bitset1_b32 s0, 10
	s_mov_b32 m0, s0
	s_sendmsg sendmsg(MSG_INTERRUPT)
	s_mov_b32 m0, ttmp2
.LBB0_714:                              ; =>This Inner Loop Header: Depth=1
	s_sethalt 5
	s_branch .LBB0_714
.LBB0_715:
	s_trap 2
	s_sendmsg_rtn_b32 s0, sendmsg(MSG_RTN_GET_DOORBELL)
	s_mov_b32 ttmp2, m0
	s_waitcnt lgkmcnt(0)
	s_and_b32 s0, s0, 0x3ff
	s_delay_alu instid0(SALU_CYCLE_1) | instskip(NEXT) | instid1(SALU_CYCLE_1)
	s_bitset1_b32 s0, 10
	s_mov_b32 m0, s0
	s_sendmsg sendmsg(MSG_INTERRUPT)
	s_mov_b32 m0, ttmp2
.LBB0_716:                              ; =>This Inner Loop Header: Depth=1
	s_sethalt 5
	s_branch .LBB0_716
.LBB0_717:
	s_trap 2
	s_sendmsg_rtn_b32 s0, sendmsg(MSG_RTN_GET_DOORBELL)
	s_mov_b32 ttmp2, m0
	s_waitcnt lgkmcnt(0)
	s_and_b32 s0, s0, 0x3ff
	s_delay_alu instid0(SALU_CYCLE_1) | instskip(NEXT) | instid1(SALU_CYCLE_1)
	s_bitset1_b32 s0, 10
	s_mov_b32 m0, s0
	s_sendmsg sendmsg(MSG_INTERRUPT)
	s_mov_b32 m0, ttmp2
.LBB0_718:                              ; =>This Inner Loop Header: Depth=1
	s_sethalt 5
	s_branch .LBB0_718
.Lfunc_end0:
	.size	_ZN12_GLOBAL__N_17runRingI11rccl_float87FuncSumIS1_E7ProtoLLLi0ELi1ELi0EEEviiP15ncclDevWorkColl, .Lfunc_end0-_ZN12_GLOBAL__N_17runRingI11rccl_float87FuncSumIS1_E7ProtoLLLi0ELi1ELi0EEEviiP15ncclDevWorkColl
                                        ; -- End function
	.section	.AMDGPU.csdata,"",@progbits
; Function info:
; codeLenInByte = 25648
; NumSgprs: 34
; NumVgprs: 166
; ScratchSize: 0
; MemoryBound: 0
	.text
	.p2align	2                               ; -- Begin function _Z50ncclDevFunc_ReduceScatter_RING_LL_Sum_f8e4m3_0_0_1v
	.type	_Z50ncclDevFunc_ReduceScatter_RING_LL_Sum_f8e4m3_0_0_1v,@function
_Z50ncclDevFunc_ReduceScatter_RING_LL_Sum_f8e4m3_0_0_1v: ; @_Z50ncclDevFunc_ReduceScatter_RING_LL_Sum_f8e4m3_0_0_1v
; %bb.0:
	s_waitcnt vmcnt(0) expcnt(0) lgkmcnt(0)
	s_mov_b32 s0, s33
	s_mov_b32 s33, s32
	s_or_saveexec_b32 s1, -1
	scratch_store_b32 off, v40, s33         ; 4-byte Folded Spill
	s_mov_b32 exec_lo, s1
	v_writelane_b32 v40, s0, 5
	s_add_i32 s32, s32, 16
	v_writelane_b32 v40, s34, 0
	v_writelane_b32 v40, s35, 1
	;; [unrolled: 1-line block ×5, first 2 shown]
	s_cbranch_execnz .LBB1_13
; %bb.1:
	ds_load_b32 v0, v0
	s_waitcnt lgkmcnt(0)
	v_cmp_gt_i32_e32 vcc_lo, 1, v0
	s_cbranch_vccnz .LBB1_12
; %bb.2:
	v_and_b32_e32 v166, 0x3ff, v31
	s_mov_b32 s36, 0
	s_mov_b64 s[34:35], src_shared_base
.LBB1_3:                                ; =>This Inner Loop Header: Depth=1
	s_cbranch_execnz .LBB1_15
; %bb.4:                                ;   in Loop: Header=BB1_3 Depth=1
	ds_load_b32 v0, v0
	s_cmp_eq_u32 s36, 0
	s_cbranch_scc1 .LBB1_8
; %bb.5:                                ;   in Loop: Header=BB1_3 Depth=1
	s_cbranch_execnz .LBB1_19
; %bb.6:                                ;   in Loop: Header=BB1_3 Depth=1
	s_waitcnt lgkmcnt(0)
	ds_load_b32 v1, v0
	s_waitcnt lgkmcnt(0)
	v_xor_b32_e32 v1, v1, v0
	s_delay_alu instid0(VALU_DEP_1) | instskip(NEXT) | instid1(VALU_DEP_1)
	v_and_b32_e32 v1, 0xff0000, v1
	v_cmp_eq_u32_e32 vcc_lo, 0, v1
	s_cbranch_vccnz .LBB1_8
; %bb.7:                                ;   in Loop: Header=BB1_3 Depth=1
	s_waitcnt_vscnt null, 0x0
	s_barrier
	buffer_gl0_inv
	ds_load_b32 v0, v0
.LBB1_8:                                ;   in Loop: Header=BB1_3 Depth=1
	s_waitcnt lgkmcnt(0)
	v_lshrrev_b32_e32 v0, 11, v0
	s_mov_b32 s34, exec_lo
	s_delay_alu instid0(VALU_DEP_1) | instskip(NEXT) | instid1(VALU_DEP_1)
	v_and_b32_e32 v1, 0x1fe0, v0
	v_cmpx_lt_u32_e64 v166, v1
	s_cbranch_execz .LBB1_10
; %bb.9:                                ;   in Loop: Header=BB1_3 Depth=1
	v_dual_mov_b32 v0, v166 :: v_dual_mov_b32 v3, s35
	s_getpc_b64 s[0:1]
	s_add_u32 s0, s0, _ZN12_GLOBAL__N_17runRingI11rccl_float87FuncSumIS1_E7ProtoLLLi0ELi1ELi0EEEviiP15ncclDevWorkColl@rel32@lo+4
	s_addc_u32 s1, s1, _ZN12_GLOBAL__N_17runRingI11rccl_float87FuncSumIS1_E7ProtoLLLi0ELi1ELi0EEEviiP15ncclDevWorkColl@rel32@hi+12
	s_mov_b64 s[28:29], s[8:9]
	s_mov_b32 s27, s12
	s_swappc_b64 s[30:31], s[0:1]
	s_mov_b32 s12, s27
	s_mov_b64 s[8:9], s[28:29]
.LBB1_10:                               ;   in Loop: Header=BB1_3 Depth=1
	s_or_b32 exec_lo, exec_lo, s34
	s_cbranch_execnz .LBB1_17
; %bb.11:                               ;   in Loop: Header=BB1_3 Depth=1
	ds_load_b32 v0, v0
	s_add_i32 s36, s36, 1
	s_waitcnt lgkmcnt(0)
	v_cmp_lt_i32_e32 vcc_lo, s36, v0
	s_cbranch_vccnz .LBB1_3
.LBB1_12:
	v_readlane_b32 s30, v40, 3
	v_readlane_b32 s31, v40, 4
	;; [unrolled: 1-line block ×6, first 2 shown]
	s_or_saveexec_b32 s1, -1
	scratch_load_b32 v40, off, s33          ; 4-byte Folded Reload
	s_mov_b32 exec_lo, s1
	s_add_i32 s32, s32, -16
	s_mov_b32 s33, s0
	s_waitcnt vmcnt(0)
	s_setpc_b64 s[30:31]
.LBB1_13:
	s_trap 2
	s_sendmsg_rtn_b32 s0, sendmsg(MSG_RTN_GET_DOORBELL)
	s_mov_b32 ttmp2, m0
	s_waitcnt lgkmcnt(0)
	s_and_b32 s0, s0, 0x3ff
	s_delay_alu instid0(SALU_CYCLE_1) | instskip(NEXT) | instid1(SALU_CYCLE_1)
	s_bitset1_b32 s0, 10
	s_mov_b32 m0, s0
	s_sendmsg sendmsg(MSG_INTERRUPT)
	s_mov_b32 m0, ttmp2
.LBB1_14:                               ; =>This Inner Loop Header: Depth=1
	s_sethalt 5
	s_branch .LBB1_14
.LBB1_15:
	s_trap 2
	s_sendmsg_rtn_b32 s0, sendmsg(MSG_RTN_GET_DOORBELL)
	s_mov_b32 ttmp2, m0
	s_waitcnt lgkmcnt(0)
	s_and_b32 s0, s0, 0x3ff
	s_delay_alu instid0(SALU_CYCLE_1) | instskip(NEXT) | instid1(SALU_CYCLE_1)
	s_bitset1_b32 s0, 10
	s_mov_b32 m0, s0
	s_sendmsg sendmsg(MSG_INTERRUPT)
	s_mov_b32 m0, ttmp2
.LBB1_16:                               ; =>This Inner Loop Header: Depth=1
	s_sethalt 5
	s_branch .LBB1_16
.LBB1_17:
	s_trap 2
	s_sendmsg_rtn_b32 s0, sendmsg(MSG_RTN_GET_DOORBELL)
	s_mov_b32 ttmp2, m0
	s_waitcnt lgkmcnt(0)
	s_and_b32 s0, s0, 0x3ff
	s_delay_alu instid0(SALU_CYCLE_1) | instskip(NEXT) | instid1(SALU_CYCLE_1)
	s_bitset1_b32 s0, 10
	s_mov_b32 m0, s0
	s_sendmsg sendmsg(MSG_INTERRUPT)
	s_mov_b32 m0, ttmp2
.LBB1_18:                               ; =>This Inner Loop Header: Depth=1
	s_sethalt 5
	s_branch .LBB1_18
.LBB1_19:
	s_trap 2
	s_sendmsg_rtn_b32 s0, sendmsg(MSG_RTN_GET_DOORBELL)
	s_mov_b32 ttmp2, m0
	s_waitcnt lgkmcnt(0)
	s_and_b32 s0, s0, 0x3ff
	s_delay_alu instid0(SALU_CYCLE_1) | instskip(NEXT) | instid1(SALU_CYCLE_1)
	s_bitset1_b32 s0, 10
	s_mov_b32 m0, s0
	s_sendmsg sendmsg(MSG_INTERRUPT)
	s_mov_b32 m0, ttmp2
.LBB1_20:                               ; =>This Inner Loop Header: Depth=1
	s_sethalt 5
	s_branch .LBB1_20
.Lfunc_end1:
	.size	_Z50ncclDevFunc_ReduceScatter_RING_LL_Sum_f8e4m3_0_0_1v, .Lfunc_end1-_Z50ncclDevFunc_ReduceScatter_RING_LL_Sum_f8e4m3_0_0_1v
                                        ; -- End function
	.section	.AMDGPU.csdata,"",@progbits
; Function info:
; codeLenInByte = 612
; NumSgprs: 39
; NumVgprs: 167
; ScratchSize: 16
; MemoryBound: 0
	.text
	.p2align	2                               ; -- Begin function _ZN12_GLOBAL__N_17runRingI11rccl_float87FuncSumIS1_E7ProtoLLLi0ELi2ELi0EEEviiP15ncclDevWorkColl
	.type	_ZN12_GLOBAL__N_17runRingI11rccl_float87FuncSumIS1_E7ProtoLLLi0ELi2ELi0EEEviiP15ncclDevWorkColl,@function
_ZN12_GLOBAL__N_17runRingI11rccl_float87FuncSumIS1_E7ProtoLLLi0ELi2ELi0EEEviiP15ncclDevWorkColl: ; @_ZN12_GLOBAL__N_17runRingI11rccl_float87FuncSumIS1_E7ProtoLLLi0ELi2ELi0EEEviiP15ncclDevWorkColl
; %bb.0:
	s_waitcnt vmcnt(0) expcnt(0) lgkmcnt(0)
	s_cbranch_execnz .LBB2_15
; %bb.1:
	v_mov_b32_e32 v4, v0
	s_clause 0x2
	flat_load_b32 v0, v[2:3]
	flat_load_b128 v[6:9], v[2:3] offset:72
	flat_load_b64 v[18:19], v[2:3] offset:88
	s_mov_b32 s0, exec_lo
                                        ; implicit-def: $vgpr26_vgpr27
	s_waitcnt vmcnt(2) lgkmcnt(2)
	v_and_b32_e32 v11, 0xff, v0
	v_bfe_u32 v10, v0, 8, 8
	s_delay_alu instid0(VALU_DEP_2) | instskip(SKIP_3) | instid1(VALU_DEP_1)
	v_not_b32_e32 v0, v11
	ds_load_b32 v5, v0
	ds_load_b64 v[24:25], v0
	v_add_nc_u32_e32 v12, v10, v0
	v_ashrrev_i32_e32 v13, 31, v12
	s_waitcnt vmcnt(1) lgkmcnt(3)
	v_mul_lo_u32 v14, v9, v12
	v_mad_u64_u32 v[20:21], null, v8, v12, 0
	s_delay_alu instid0(VALU_DEP_3) | instskip(NEXT) | instid1(VALU_DEP_1)
	v_mul_lo_u32 v12, v8, v13
	v_add3_u32 v64, v21, v12, v14
	s_waitcnt lgkmcnt(1)
	v_readfirstlane_b32 s10, v5
                                        ; implicit-def: $vgpr21_vgpr22
	v_cmpx_ne_u32_e64 v11, v5
	s_xor_b32 s0, exec_lo, s0
	s_cbranch_execz .LBB2_7
; %bb.2:
	s_mov_b32 s1, exec_lo
                                        ; implicit-def: $vgpr21_vgpr22
                                        ; implicit-def: $vgpr26_vgpr27
	v_cmpx_ne_u32_e64 v10, v5
	s_xor_b32 s1, exec_lo, s1
	s_cbranch_execz .LBB2_4
; %bb.3:
	flat_load_b64 v[10:11], v[2:3] offset:96
	v_add_nc_u32_e32 v0, v5, v0
	s_delay_alu instid0(VALU_DEP_1) | instskip(SKIP_2) | instid1(VALU_DEP_3)
	v_ashrrev_i32_e32 v5, 31, v0
	v_mul_lo_u32 v12, v9, v0
	v_mad_u64_u32 v[26:27], null, v8, v0, v[6:7]
	v_mul_lo_u32 v5, v8, v5
	s_delay_alu instid0(VALU_DEP_1)
	v_add3_u32 v27, v12, v27, v5
	s_waitcnt vmcnt(0) lgkmcnt(0)
	v_lshrrev_b64 v[21:22], 17, v[10:11]
.LBB2_4:
	s_and_not1_saveexec_b32 s1, s1
	s_cbranch_execz .LBB2_6
; %bb.5:
	flat_load_b32 v0, v[2:3] offset:100
	v_add_co_u32 v26, vcc_lo, v20, v6
	v_add_co_ci_u32_e32 v27, vcc_lo, v64, v7, vcc_lo
	s_waitcnt vmcnt(1)
	v_dual_mov_b32 v8, v18 :: v_dual_mov_b32 v9, v19
	s_waitcnt vmcnt(0) lgkmcnt(0)
	v_lshrrev_b32_e32 v21, 6, v0
.LBB2_6:
	s_or_b32 exec_lo, exec_lo, s1
.LBB2_7:
	s_and_not1_saveexec_b32 s0, s0
	s_cbranch_execz .LBB2_9
; %bb.8:
	flat_load_b64 v[8:9], v[2:3] offset:96
	v_mov_b32_e32 v26, 0
	v_mov_b32_e32 v27, 0
	s_waitcnt vmcnt(0) lgkmcnt(0)
	v_lshlrev_b64 v[21:22], 4, v[8:9]
	v_dual_mov_b32 v9, v7 :: v_dual_mov_b32 v8, v6
.LBB2_9:
	s_or_b32 exec_lo, exec_lo, s0
	s_load_b32 s0, s[8:9], 0x0
	v_mov_b32_e32 v0, 0
	s_mov_b32 s2, 0
	s_waitcnt lgkmcnt(0)
	s_cmp_lt_u32 s12, s0
	s_cselect_b32 s0, 12, 18
	s_delay_alu instid0(SALU_CYCLE_1)
	s_add_u32 s0, s8, s0
	s_addc_u32 s1, s9, 0
	s_clause 0x2
	flat_load_b128 v[10:13], v[2:3] offset:16
	flat_load_u16 v15, v[2:3] offset:8
	flat_load_b32 v14, v[2:3] offset:4
	global_load_u16 v0, v0, s[0:1]
	s_cbranch_execnz .LBB2_17
; %bb.10:
	s_waitcnt vmcnt(0)
	ds_load_b32 v2, v0
	v_ashrrev_i32_e32 v5, 31, v4
	s_waitcnt lgkmcnt(1)
	v_lshrrev_b64 v[14:15], 31, v[14:15]
	s_delay_alu instid0(VALU_DEP_2) | instskip(NEXT) | instid1(VALU_DEP_2)
	v_lshrrev_b32_e32 v3, 27, v5
	v_and_b32_e32 v15, 3, v14
	s_delay_alu instid0(VALU_DEP_2) | instskip(NEXT) | instid1(VALU_DEP_1)
	v_add_nc_u32_e32 v3, v4, v3
	v_and_b32_e32 v3, 0xffffffe0, v3
	s_waitcnt lgkmcnt(0)
	v_cmp_gt_i32_e32 vcc_lo, 0, v2
	s_delay_alu instid0(VALU_DEP_2)
	v_sub_nc_u32_e32 v14, v4, v3
	v_readfirstlane_b32 s1, v2
	s_cbranch_vccnz .LBB2_19
; %bb.11:
	s_delay_alu instid0(VALU_DEP_2)
	v_cmp_eq_u32_e32 vcc_lo, 0, v14
	s_cbranch_execnz .LBB2_23
; %bb.12:
	ds_load_b64 v[16:17], v0
	v_dual_mov_b32 v3, 0 :: v_dual_and_b32 v22, 0xffff, v15
	s_mov_b32 s2, 1
	s_delay_alu instid0(VALU_DEP_1) | instskip(SKIP_1) | instid1(VALU_DEP_1)
	v_lshlrev_b64 v[2:3], 3, v[2:3]
	s_waitcnt lgkmcnt(0)
	v_add_co_u32 v2, s0, v16, v2
	s_delay_alu instid0(VALU_DEP_1)
	v_add_co_ci_u32_e64 v3, s0, v17, v3, s0
	flat_load_b64 v[2:3], v[2:3]
	s_waitcnt vmcnt(0) lgkmcnt(0)
	v_mad_u64_u32 v[16:17], null, 0xa8, v22, v[2:3]
	s_clause 0x1
	flat_load_b64 v[32:33], v[16:17] offset:504
	flat_load_b64 v[34:35], v[16:17] offset:608
	v_add_co_u32 v2, s0, 0x1f8, v16
	s_delay_alu instid0(VALU_DEP_1) | instskip(NEXT) | instid1(VALU_DEP_1)
	v_add_co_ci_u32_e64 v3, s0, 0, v17, s0
	v_dual_cndmask_b32 v28, 0, v2 :: v_dual_cndmask_b32 v29, 0, v3
	s_cbranch_execz .LBB2_20
.LBB2_13:
	s_trap 2
	s_sendmsg_rtn_b32 s0, sendmsg(MSG_RTN_GET_DOORBELL)
	s_mov_b32 ttmp2, m0
	s_waitcnt lgkmcnt(0)
	s_and_b32 s0, s0, 0x3ff
	s_delay_alu instid0(SALU_CYCLE_1) | instskip(NEXT) | instid1(SALU_CYCLE_1)
	s_bitset1_b32 s0, 10
	s_mov_b32 m0, s0
	s_sendmsg sendmsg(MSG_INTERRUPT)
	s_mov_b32 m0, ttmp2
.LBB2_14:                               ; =>This Inner Loop Header: Depth=1
	s_sethalt 5
	s_branch .LBB2_14
.LBB2_15:
	s_trap 2
	s_sendmsg_rtn_b32 s0, sendmsg(MSG_RTN_GET_DOORBELL)
	s_mov_b32 ttmp2, m0
	s_waitcnt lgkmcnt(0)
	s_and_b32 s0, s0, 0x3ff
	s_delay_alu instid0(SALU_CYCLE_1) | instskip(NEXT) | instid1(SALU_CYCLE_1)
	s_bitset1_b32 s0, 10
	s_mov_b32 m0, s0
	s_sendmsg sendmsg(MSG_INTERRUPT)
	s_mov_b32 m0, ttmp2
.LBB2_16:                               ; =>This Inner Loop Header: Depth=1
	s_sethalt 5
	s_branch .LBB2_16
.LBB2_17:
	s_trap 2
	s_sendmsg_rtn_b32 s0, sendmsg(MSG_RTN_GET_DOORBELL)
	s_mov_b32 ttmp2, m0
	s_waitcnt lgkmcnt(0)
	s_and_b32 s0, s0, 0x3ff
	s_delay_alu instid0(SALU_CYCLE_1) | instskip(NEXT) | instid1(SALU_CYCLE_1)
	s_bitset1_b32 s0, 10
	s_mov_b32 m0, s0
	s_sendmsg sendmsg(MSG_INTERRUPT)
	s_mov_b32 m0, ttmp2
.LBB2_18:                               ; =>This Inner Loop Header: Depth=1
	s_sethalt 5
	s_branch .LBB2_18
.LBB2_19:
	v_mov_b32_e32 v28, 0
	v_mov_b32_e32 v29, 0
                                        ; implicit-def: $vgpr34_vgpr35
                                        ; implicit-def: $vgpr32_vgpr33
	s_cbranch_execnz .LBB2_13
.LBB2_20:
	ds_load_b32 v2, v0
	v_mov_b32_e32 v38, 0
	v_mov_b32_e32 v39, 0
	s_waitcnt lgkmcnt(0)
	v_cmp_gt_i32_e32 vcc_lo, 0, v2
	s_cbranch_vccnz .LBB2_25
; %bb.21:
	s_cbranch_execnz .LBB2_637
; %bb.22:
	ds_load_b64 v[16:17], v0
	v_mov_b32_e32 v3, 0
	s_delay_alu instid0(VALU_DEP_1) | instskip(SKIP_1) | instid1(VALU_DEP_1)
	v_lshlrev_b64 v[2:3], 3, v[2:3]
	s_waitcnt lgkmcnt(0)
	v_add_co_u32 v2, vcc_lo, v16, v2
	s_delay_alu instid0(VALU_DEP_2)
	v_add_co_ci_u32_e32 v3, vcc_lo, v17, v3, vcc_lo
	v_and_b32_e32 v17, 0xffff, v15
	v_cmp_eq_u32_e32 vcc_lo, 0, v14
	flat_load_b64 v[2:3], v[2:3]
	s_waitcnt vmcnt(0) lgkmcnt(0)
	v_mad_u64_u32 v[15:16], null, 0xa8, v17, v[2:3]
	s_clause 0x1
	flat_load_b64 v[48:49], v[15:16]
	flat_load_b64 v[22:23], v[15:16] offset:104
	v_dual_cndmask_b32 v36, 0, v15 :: v_dual_cndmask_b32 v37, 0, v16
	s_branch .LBB2_26
.LBB2_23:
	s_trap 2
	s_sendmsg_rtn_b32 s0, sendmsg(MSG_RTN_GET_DOORBELL)
	s_mov_b32 ttmp2, m0
	s_waitcnt lgkmcnt(0)
	s_and_b32 s0, s0, 0x3ff
	s_delay_alu instid0(SALU_CYCLE_1) | instskip(NEXT) | instid1(SALU_CYCLE_1)
	s_bitset1_b32 s0, 10
	s_mov_b32 m0, s0
	s_sendmsg sendmsg(MSG_INTERRUPT)
	s_mov_b32 m0, ttmp2
.LBB2_24:                               ; =>This Inner Loop Header: Depth=1
	s_sethalt 5
	s_branch .LBB2_24
.LBB2_25:
	s_delay_alu instid0(VALU_DEP_2)
	v_dual_mov_b32 v36, v38 :: v_dual_mov_b32 v37, v39
                                        ; implicit-def: $vgpr22_vgpr23
                                        ; implicit-def: $vgpr48_vgpr49
.LBB2_26:
	v_subrev_nc_u32_e32 v2, 32, v1
	v_cmp_gt_i32_e64 s0, s2, v14
                                        ; implicit-def: $vgpr50_vgpr51
	s_delay_alu instid0(VALU_DEP_2) | instskip(NEXT) | instid1(VALU_DEP_2)
	v_cmp_le_i32_e32 vcc_lo, v2, v4
	s_and_b32 s12, vcc_lo, s0
	s_delay_alu instid0(SALU_CYCLE_1)
	s_and_saveexec_b32 s0, s12
; %bb.27:
	s_clause 0x1
	flat_load_b64 v[38:39], v[28:29] offset:56
	flat_load_b64 v[50:51], v[28:29] offset:104
; %bb.28:
	s_or_b32 exec_lo, exec_lo, s0
	v_mov_b32_e32 v2, 0
	v_mov_b32_e32 v3, 0
	v_cmp_gt_i32_e64 s0, s2, v4
                                        ; implicit-def: $vgpr54_vgpr55
	s_delay_alu instid0(VALU_DEP_2) | instskip(SKIP_1) | instid1(VALU_DEP_3)
	v_dual_mov_b32 v15, v3 :: v_dual_mov_b32 v14, v2
	v_dual_mov_b32 v53, v3 :: v_dual_mov_b32 v52, v2
	s_and_saveexec_b32 s2, s0
	s_cbranch_execz .LBB2_30
; %bb.29:
	flat_load_b64 v[52:53], v[36:37] offset:56
	s_waitcnt vmcnt(0) lgkmcnt(0)
	flat_load_b64 v[54:55], v[52:53] glc dlc
	s_waitcnt vmcnt(0)
	flat_load_b128 v[14:17], v[36:37] offset:96
.LBB2_30:
	s_or_b32 exec_lo, exec_lo, s2
	v_and_b32_e32 v0, 0xffff, v0
	s_mov_b32 s13, exec_lo
	v_cmpx_ne_u64_e32 0, v[8:9]
	s_cbranch_execz .LBB2_625
; %bb.31:
	v_add_co_u32 v2, vcc_lo, v18, v6
	s_ashr_i32 s2, s1, 31
	v_add_co_ci_u32_e32 v3, vcc_lo, v19, v7, vcc_lo
	s_delay_alu instid0(VALU_DEP_2)
	v_add_co_u32 v30, vcc_lo, v2, v20
	v_ashrrev_i32_e32 v2, 31, v1
	s_lshr_b32 s2, s2, 29
	s_ashr_i32 s11, s10, 31
	s_add_i32 s1, s1, s2
	s_lshl_b64 s[2:3], s[10:11], 2
	v_add_co_ci_u32_e32 v100, vcc_lo, v3, v64, vcc_lo
	v_add_co_u32 v3, vcc_lo, v24, s2
	v_lshrrev_b32_e32 v18, 27, v2
	v_dual_mov_b32 v65, 0 :: v_dual_lshlrev_b32 v102, 3, v4
	v_and_b32_e32 v66, 0x1fffff0, v21
	v_add_co_ci_u32_e32 v7, vcc_lo, s3, v25, vcc_lo
	v_add_co_u32 v6, vcc_lo, v3, -4
	v_dual_mov_b32 v68, 0 :: v_dual_add_nc_u32 v3, v1, v18
	v_mov_b32_e32 v69, 0
	v_ashrrev_i32_e32 v113, 31, v102
	v_dual_mov_b32 v67, v65 :: v_dual_and_b32 v18, 31, v31
	v_add_co_ci_u32_e32 v7, vcc_lo, -1, v7, vcc_lo
	v_add_co_u32 v115, vcc_lo, v12, v102
	s_delay_alu instid0(VALU_DEP_4) | instskip(NEXT) | instid1(VALU_DEP_4)
	v_add_co_ci_u32_e32 v116, vcc_lo, v13, v113, vcc_lo
	v_cmp_eq_u32_e64 s5, 0, v18
	v_add_co_u32 v117, vcc_lo, v10, v102
	v_lshlrev_b64 v[18:19], 4, v[4:5]
	v_add_co_ci_u32_e32 v118, vcc_lo, v11, v113, vcc_lo
	v_ashrrev_i32_e32 v101, 5, v3
	v_dual_mov_b32 v130, 0 :: v_dual_lshlrev_b32 v103, 3, v1
	v_add_co_u32 v10, vcc_lo, v115, v26
	v_add_co_ci_u32_e32 v11, vcc_lo, v116, v27, vcc_lo
	s_ashr_i32 s4, s1, 3
	s_waitcnt vmcnt(1) lgkmcnt(1)
	v_add_co_u32 v119, vcc_lo, v48, v18
	s_ashr_i32 s14, s1, 7
	v_cmp_ne_u64_e64 s1, 0, v[52:53]
	s_waitcnt vmcnt(0) lgkmcnt(0)
	v_cmp_ne_u64_e64 s2, 0, v[14:15]
	v_cmp_ne_u64_e64 s6, 0, v[38:39]
	v_lshlrev_b32_e32 v5, 6, v1
	v_lshlrev_b64 v[70:71], 4, v[1:2]
	v_mov_b32_e32 v2, v68
	s_and_b32 s11, s4, -16
	v_cmp_ne_u32_e64 s3, 32, v1
	v_cmp_ne_u32_e64 s4, v0, v1
	v_ashrrev_i32_e32 v112, 31, v101
	v_ashrrev_i32_e32 v114, 31, v103
	v_add_co_ci_u32_e32 v128, vcc_lo, v49, v19, vcc_lo
	v_mov_b32_e32 v129, 1
	v_mov_b32_e32 v3, v69
	s_cmp_gt_i32 s10, 2
	s_mov_b32 s15, 0
	s_cselect_b32 s16, -1, 0
.LBB2_32:                               ; =>This Loop Header: Depth=1
                                        ;     Child Loop BB2_39 Depth 2
                                        ;     Child Loop BB2_59 Depth 2
	;; [unrolled: 1-line block ×5, first 2 shown]
                                        ;       Child Loop BB2_92 Depth 3
                                        ;       Child Loop BB2_112 Depth 3
	;; [unrolled: 1-line block ×3, first 2 shown]
                                        ;         Child Loop BB2_138 Depth 4
                                        ;       Child Loop BB2_348 Depth 3
                                        ;       Child Loop BB2_365 Depth 3
                                        ;     Child Loop BB2_370 Depth 2
                                        ;       Child Loop BB2_378 Depth 3
                                        ;     Child Loop BB2_608 Depth 2
	s_waitcnt vmcnt(0) lgkmcnt(0)
	flat_load_b32 v20, v[6:7]
	v_sub_co_u32 v18, vcc_lo, v8, v68
	v_sub_co_ci_u32_e32 v19, vcc_lo, v9, v69, vcc_lo
	s_delay_alu instid0(VALU_DEP_1) | instskip(SKIP_1) | instid1(VALU_DEP_1)
	v_cmp_lt_u64_e32 vcc_lo, v[66:67], v[18:19]
	v_cndmask_b32_e32 v21, v18, v66, vcc_lo
	v_lshl_add_u32 v18, v21, 1, 14
	s_delay_alu instid0(VALU_DEP_1)
	v_and_b32_e32 v132, 0x7fffff0, v18
	s_and_saveexec_b32 s7, s1
	s_cbranch_execz .LBB2_50
; %bb.33:                               ;   in Loop: Header=BB2_32 Depth=1
	v_add_co_u32 v18, vcc_lo, v16, 1
	v_add_co_ci_u32_e32 v19, vcc_lo, 0, v17, vcc_lo
	v_add_co_u32 v80, vcc_lo, v54, 8
	v_add_co_ci_u32_e32 v81, vcc_lo, 0, v55, vcc_lo
	s_mov_b32 s8, exec_lo
	s_delay_alu instid0(VALU_DEP_1)
	v_cmpx_lt_u64_e64 v[80:81], v[18:19]
	s_cbranch_execz .LBB2_47
; %bb.34:                               ;   in Loop: Header=BB2_32 Depth=1
	s_sleep 1
	flat_load_b64 v[54:55], v[52:53] glc
	v_cmp_eq_u32_e32 vcc_lo, 0, v130
	s_and_saveexec_b32 s9, vcc_lo
	s_cbranch_execz .LBB2_46
; %bb.35:                               ;   in Loop: Header=BB2_32 Depth=1
	v_cndmask_b32_e64 v17, 0, 1, vcc_lo
	s_mov_b32 s17, 0
                                        ; implicit-def: $sgpr18
	s_branch .LBB2_39
.LBB2_36:                               ;   in Loop: Header=BB2_39 Depth=2
	s_or_b32 exec_lo, exec_lo, s21
	s_delay_alu instid0(SALU_CYCLE_1)
	s_or_not1_b32 s21, s22, exec_lo
.LBB2_37:                               ;   in Loop: Header=BB2_39 Depth=2
	s_or_b32 exec_lo, exec_lo, s20
	s_xor_b32 s20, s21, -1
	s_and_not1_b32 s18, s18, exec_lo
	s_and_b32 s20, s20, exec_lo
	s_delay_alu instid0(SALU_CYCLE_1)
	s_or_b32 s18, s18, s20
.LBB2_38:                               ;   in Loop: Header=BB2_39 Depth=2
	s_or_b32 exec_lo, exec_lo, s19
	s_delay_alu instid0(SALU_CYCLE_1) | instskip(NEXT) | instid1(SALU_CYCLE_1)
	s_and_b32 s19, exec_lo, s18
	s_or_b32 s17, s19, s17
	s_delay_alu instid0(SALU_CYCLE_1)
	s_and_not1_b32 exec_lo, exec_lo, s17
	s_cbranch_execz .LBB2_45
.LBB2_39:                               ;   Parent Loop BB2_32 Depth=1
                                        ; =>  This Inner Loop Header: Depth=2
	s_waitcnt vmcnt(0) lgkmcnt(0)
	v_add_co_u32 v80, vcc_lo, v54, 8
	v_add_co_ci_u32_e32 v81, vcc_lo, 0, v55, vcc_lo
	v_mov_b32_e32 v130, 0
	s_or_b32 s18, s18, exec_lo
	s_mov_b32 s19, exec_lo
	s_delay_alu instid0(VALU_DEP_2)
	v_cmpx_lt_u64_e64 v[80:81], v[18:19]
	s_cbranch_execz .LBB2_38
; %bb.40:                               ;   in Loop: Header=BB2_39 Depth=2
	s_sleep 1
	flat_load_b64 v[54:55], v[52:53] glc
	v_dual_mov_b32 v130, 0 :: v_dual_add_nc_u32 v17, 1, v17
	s_mov_b32 s21, -1
	s_mov_b32 s20, exec_lo
	s_delay_alu instid0(VALU_DEP_1)
	v_cmpx_eq_u32_e32 0x2710, v17
	s_cbranch_execz .LBB2_37
; %bb.41:                               ;   in Loop: Header=BB2_39 Depth=2
	s_cbranch_execnz .LBB2_643
; %bb.42:                               ;   in Loop: Header=BB2_39 Depth=2
	ds_load_b64 v[80:81], v0
	v_dual_mov_b32 v17, 0 :: v_dual_mov_b32 v130, 0
	s_mov_b32 s22, -1
	s_mov_b32 s21, exec_lo
	s_waitcnt vmcnt(0) lgkmcnt(0)
	s_waitcnt_vscnt null, 0x0
	flat_load_b32 v64, v[80:81] glc
	s_waitcnt vmcnt(0) lgkmcnt(0)
	buffer_gl1_inv
	buffer_gl0_inv
	v_cmpx_ne_u32_e32 0, v64
	s_cbranch_execz .LBB2_36
; %bb.43:                               ;   in Loop: Header=BB2_39 Depth=2
	ds_store_b32 v0, v64
	s_cbranch_execnz .LBB2_668
; %bb.44:                               ;   in Loop: Header=BB2_39 Depth=2
	v_mov_b32_e32 v130, 1
	s_xor_b32 s22, exec_lo, -1
	s_branch .LBB2_36
.LBB2_45:                               ;   in Loop: Header=BB2_32 Depth=1
	s_or_b32 exec_lo, exec_lo, s17
.LBB2_46:                               ;   in Loop: Header=BB2_32 Depth=1
	s_delay_alu instid0(SALU_CYCLE_1)
	s_or_b32 exec_lo, exec_lo, s9
.LBB2_47:                               ;   in Loop: Header=BB2_32 Depth=1
	s_delay_alu instid0(SALU_CYCLE_1)
	s_or_b32 exec_lo, exec_lo, s8
	s_and_saveexec_b32 s8, s2
	s_cbranch_execz .LBB2_49
; %bb.48:                               ;   in Loop: Header=BB2_32 Depth=1
	v_and_b32_e32 v64, 0x7ffffff8, v16
	v_and_b32_e32 v17, 7, v16
	s_delay_alu instid0(VALU_DEP_2) | instskip(NEXT) | instid1(VALU_DEP_2)
	v_cmp_eq_u64_e32 vcc_lo, 0x7ffffff8, v[64:65]
	v_mad_u64_u32 v[80:81], null, v17, 24, v[14:15]
	v_cndmask_b32_e64 v16, v132, s11, vcc_lo
	s_delay_alu instid0(VALU_DEP_1)
	v_ashrrev_i32_e32 v17, 31, v16
	flat_store_b64 v[80:81], v[16:17] offset:8 dlc
	s_waitcnt_vscnt null, 0x0
.LBB2_49:                               ;   in Loop: Header=BB2_32 Depth=1
	s_or_b32 exec_lo, exec_lo, s8
	v_dual_mov_b32 v16, v18 :: v_dual_mov_b32 v17, v19
.LBB2_50:                               ;   in Loop: Header=BB2_32 Depth=1
	s_or_b32 exec_lo, exec_lo, s7
	s_and_saveexec_b32 s7, s3
	s_cbranch_execz .LBB2_72
; %bb.51:                               ;   in Loop: Header=BB2_32 Depth=1
	s_and_saveexec_b32 s8, s4
	s_delay_alu instid0(SALU_CYCLE_1)
	s_xor_b32 s8, exec_lo, s8
	s_cbranch_execz .LBB2_69
; %bb.52:                               ;   in Loop: Header=BB2_32 Depth=1
	s_and_saveexec_b32 s9, s5
	s_cbranch_execz .LBB2_68
; %bb.53:                               ;   in Loop: Header=BB2_32 Depth=1
	s_mov_b32 s18, exec_lo
	s_mov_b32 s17, exec_lo
	v_mbcnt_lo_u32_b32 v18, s18, 0
	s_waitcnt vmcnt(0) lgkmcnt(0)
	s_waitcnt_vscnt null, 0x0
	buffer_gl1_inv
	buffer_gl0_inv
	v_cmpx_eq_u32_e32 0, v18
	s_cbranch_execz .LBB2_55
; %bb.54:                               ;   in Loop: Header=BB2_32 Depth=1
	s_bcnt1_i32_b32 s18, s18
	s_delay_alu instid0(SALU_CYCLE_1)
	v_mov_b32_e32 v64, s18
	ds_add_u64 v0, v[64:65]
	s_cbranch_execnz .LBB2_662
.LBB2_55:                               ;   in Loop: Header=BB2_32 Depth=1
	s_or_b32 exec_lo, exec_lo, s17
	s_cbranch_execnz .LBB2_649
; %bb.56:                               ;   in Loop: Header=BB2_32 Depth=1
	ds_load_b64 v[18:19], v0
	v_add_co_u32 v2, vcc_lo, v2, v101
	v_add_co_ci_u32_e32 v3, vcc_lo, v3, v112, vcc_lo
	s_mov_b32 s17, exec_lo
	s_waitcnt lgkmcnt(0)
	s_delay_alu instid0(VALU_DEP_1)
	v_cmpx_lt_u64_e64 v[18:19], v[2:3]
	s_cbranch_execz .LBB2_67
; %bb.57:                               ;   in Loop: Header=BB2_32 Depth=1
	s_mov_b32 s18, 0
	s_mov_b32 s21, 0
                                        ; implicit-def: $sgpr19
                                        ; implicit-def: $sgpr20
	s_branch .LBB2_59
.LBB2_58:                               ;   in Loop: Header=BB2_59 Depth=2
	s_or_b32 exec_lo, exec_lo, s24
	s_delay_alu instid0(SALU_CYCLE_1) | instskip(NEXT) | instid1(SALU_CYCLE_1)
	s_and_b32 s22, exec_lo, s23
	s_or_b32 s18, s22, s18
	s_and_not1_b32 s19, s19, exec_lo
	s_and_b32 s22, s20, exec_lo
	s_delay_alu instid0(SALU_CYCLE_1)
	s_or_b32 s19, s19, s22
	s_and_not1_b32 exec_lo, exec_lo, s18
	s_cbranch_execz .LBB2_65
.LBB2_59:                               ;   Parent Loop BB2_32 Depth=1
                                        ; =>  This Inner Loop Header: Depth=2
	s_add_i32 s21, s21, 1
                                        ; implicit-def: $sgpr23
	s_delay_alu instid0(SALU_CYCLE_1) | instskip(SKIP_1) | instid1(SALU_CYCLE_1)
	s_cmpk_lg_i32 s21, 0x2710
	s_cselect_b32 s22, -1, 0
	s_and_b32 vcc_lo, exec_lo, s22
	s_cbranch_vccz .LBB2_63
.LBB2_60:                               ;   in Loop: Header=BB2_59 Depth=2
	s_and_not1_b32 s20, s20, exec_lo
	s_and_b32 s24, s23, exec_lo
	s_mov_b32 s23, -1
	s_or_b32 s20, s20, s24
	s_and_saveexec_b32 s24, s22
	s_cbranch_execz .LBB2_58
; %bb.61:                               ;   in Loop: Header=BB2_59 Depth=2
	s_sleep 1
	s_cbranch_execnz .LBB2_676
; %bb.62:                               ;   in Loop: Header=BB2_59 Depth=2
	ds_load_b64 v[18:19], v0
	s_and_not1_b32 s20, s20, exec_lo
	s_waitcnt lgkmcnt(0)
	v_cmp_ge_u64_e32 vcc_lo, v[18:19], v[2:3]
	s_or_not1_b32 s23, vcc_lo, exec_lo
	s_branch .LBB2_58
.LBB2_63:                               ;   in Loop: Header=BB2_59 Depth=2
	s_cbranch_execnz .LBB2_684
; %bb.64:                               ;   in Loop: Header=BB2_59 Depth=2
	ds_load_b64 v[18:19], v0
	s_and_not1_b32 s22, s22, exec_lo
	s_mov_b32 s21, 0
	s_mov_b32 s23, -1
	s_waitcnt lgkmcnt(0)
	flat_load_b32 v18, v[18:19] glc
	s_waitcnt vmcnt(0) lgkmcnt(0)
	buffer_gl1_inv
	buffer_gl0_inv
	v_cmp_eq_u32_e32 vcc_lo, 0, v18
	s_and_b32 s24, vcc_lo, exec_lo
	s_delay_alu instid0(SALU_CYCLE_1)
	s_or_b32 s22, s22, s24
	s_branch .LBB2_60
.LBB2_65:                               ;   in Loop: Header=BB2_32 Depth=1
	s_or_b32 exec_lo, exec_lo, s18
	s_and_saveexec_b32 s18, s19
	s_delay_alu instid0(SALU_CYCLE_1)
	s_xor_b32 s18, exec_lo, s18
	s_cbranch_execz .LBB2_67
; %bb.66:                               ;   in Loop: Header=BB2_32 Depth=1
	ds_store_b32 v0, v129
	s_cbranch_execnz .LBB2_709
.LBB2_67:                               ;   in Loop: Header=BB2_32 Depth=1
	s_or_b32 exec_lo, exec_lo, s17
	;;#ASMSTART
	s_wakeup
	;;#ASMEND
.LBB2_68:                               ;   in Loop: Header=BB2_32 Depth=1
	s_or_b32 exec_lo, exec_lo, s9
.LBB2_69:                               ;   in Loop: Header=BB2_32 Depth=1
	s_and_not1_saveexec_b32 s8, s8
	s_cbranch_execz .LBB2_71
; %bb.70:                               ;   in Loop: Header=BB2_32 Depth=1
	s_waitcnt vmcnt(0) lgkmcnt(0)
	s_waitcnt_vscnt null, 0x0
	buffer_gl1_inv
	buffer_gl0_inv
	s_barrier
.LBB2_71:                               ;   in Loop: Header=BB2_32 Depth=1
	s_or_b32 exec_lo, exec_lo, s8
.LBB2_72:                               ;   in Loop: Header=BB2_32 Depth=1
	s_delay_alu instid0(SALU_CYCLE_1) | instskip(SKIP_2) | instid1(VALU_DEP_2)
	s_or_b32 exec_lo, exec_lo, s7
	v_sub_nc_u32_e32 v131, v21, v102
	v_mov_b32_e32 v80, v4
	v_cmp_lt_i32_e64 s7, 0, v131
	s_delay_alu instid0(VALU_DEP_1)
	s_and_saveexec_b32 s9, s7
	s_cbranch_execz .LBB2_80
; %bb.73:                               ;   in Loop: Header=BB2_32 Depth=1
	v_and_b32_e32 v18, 7, v22
	s_waitcnt vmcnt(0) lgkmcnt(0)
	v_ashrrev_i32_e32 v21, 31, v20
	v_mad_u64_u32 v[81:82], null, v30, v20, v[10:11]
	v_mul_lo_u32 v83, v100, v20
	v_mul_lo_u32 v18, v18, s14
	s_delay_alu instid0(VALU_DEP_4)
	v_mul_lo_u32 v85, v30, v21
	v_mov_b32_e32 v80, v22
	v_mul_lo_u32 v84, v30, v20
	v_add_co_u32 v87, vcc_lo, 0, 0
	v_mov_b32_e32 v64, v131
	s_mov_b32 s17, 0
	v_ashrrev_i32_e32 v19, 31, v18
	v_add3_u32 v82, v83, v82, v85
	v_add_lshl_u32 v96, v10, v84, 3
	s_delay_alu instid0(VALU_DEP_3) | instskip(SKIP_2) | instid1(VALU_DEP_3)
	v_lshlrev_b64 v[20:21], 4, v[18:19]
	v_add_co_ci_u32_e32 v19, vcc_lo, 1, v80, vcc_lo
	v_mov_b32_e32 v80, v4
	v_add_co_u32 v83, vcc_lo, v119, v20
	s_delay_alu instid0(VALU_DEP_4)
	v_add_co_ci_u32_e32 v84, vcc_lo, v128, v21, vcc_lo
	s_set_inst_prefetch_distance 0x1
	s_branch .LBB2_75
	.p2align	6
.LBB2_74:                               ;   in Loop: Header=BB2_75 Depth=2
	s_or_b32 exec_lo, exec_lo, s8
	s_waitcnt vmcnt(0) lgkmcnt(0)
	v_alignbit_b32 v18, v98, v18, v96
	v_alignbit_b32 v20, v97, v98, v96
	v_dual_mov_b32 v21, v19 :: v_dual_add_nc_u32 v80, v80, v1
	v_sub_nc_u32_e32 v64, v64, v103
	s_delay_alu instid0(VALU_DEP_4) | instskip(NEXT) | instid1(VALU_DEP_4)
	v_or_b32_e32 v18, v87, v18
	v_or_b32_e32 v20, v87, v20
	v_add_co_u32 v81, vcc_lo, v81, v103
	v_add_co_ci_u32_e32 v82, vcc_lo, v82, v114, vcc_lo
	global_store_b128 v[83:84], v[18:21], off
	v_cmp_gt_i32_e32 vcc_lo, 1, v64
	v_add_co_u32 v83, s8, v83, v70
	v_add_nc_u32_e32 v96, v96, v5
	v_add_co_ci_u32_e64 v84, s8, v84, v71, s8
	s_or_b32 s17, vcc_lo, s17
	s_delay_alu instid0(SALU_CYCLE_1)
	s_and_not1_b32 exec_lo, exec_lo, s17
	s_cbranch_execz .LBB2_79
.LBB2_75:                               ;   Parent Loop BB2_32 Depth=1
                                        ; =>  This Inner Loop Header: Depth=2
	v_dual_mov_b32 v21, v82 :: v_dual_and_b32 v20, -4, v81
	v_min_u32_e32 v85, 8, v64
	v_dual_mov_b32 v97, 0 :: v_dual_and_b32 v86, 3, v81
	v_mov_b32_e32 v98, 0
	flat_load_b32 v18, v[20:21] glc
	v_add_co_u32 v85, s8, v86, v85
	s_delay_alu instid0(VALU_DEP_1) | instskip(SKIP_1) | instid1(VALU_DEP_1)
	v_add_co_ci_u32_e64 v86, null, 0, 0, s8
	s_mov_b32 s8, exec_lo
	v_cmpx_lt_u64_e32 4, v[85:86]
	s_cbranch_execz .LBB2_77
; %bb.76:                               ;   in Loop: Header=BB2_75 Depth=2
	flat_load_b32 v98, v[20:21] offset:4 glc
.LBB2_77:                               ;   in Loop: Header=BB2_75 Depth=2
	s_or_b32 exec_lo, exec_lo, s8
	s_delay_alu instid0(SALU_CYCLE_1)
	s_mov_b32 s8, exec_lo
	v_cmpx_lt_u64_e32 8, v[85:86]
	s_cbranch_execz .LBB2_74
; %bb.78:                               ;   in Loop: Header=BB2_75 Depth=2
	flat_load_b32 v97, v[20:21] offset:8 glc
	s_branch .LBB2_74
.LBB2_79:                               ;   in Loop: Header=BB2_32 Depth=1
	s_set_inst_prefetch_distance 0x2
	s_or_b32 exec_lo, exec_lo, s17
.LBB2_80:                               ;   in Loop: Header=BB2_32 Depth=1
	s_delay_alu instid0(SALU_CYCLE_1) | instskip(SKIP_2) | instid1(VALU_DEP_2)
	s_or_b32 exec_lo, exec_lo, s9
	v_and_b32_e32 v64, 0x7ffffff8, v22
	v_cmp_gt_i32_e64 s8, s14, v80
	v_cmp_eq_u64_e32 vcc_lo, 0x7ffffff8, v[64:65]
	s_delay_alu instid0(VALU_DEP_2) | instskip(NEXT) | instid1(SALU_CYCLE_1)
	s_and_b32 s8, vcc_lo, s8
	s_and_saveexec_b32 s9, s8
	s_cbranch_execz .LBB2_83
; %bb.81:                               ;   in Loop: Header=BB2_32 Depth=1
	v_and_b32_e32 v18, 7, v22
	v_ashrrev_i32_e32 v81, 31, v80
	v_mov_b32_e32 v64, v22
	s_mov_b32 s17, 0
	s_delay_alu instid0(VALU_DEP_3) | instskip(SKIP_2) | instid1(VALU_DEP_2)
	v_mul_lo_u32 v18, v18, s14
	s_waitcnt vmcnt(0) lgkmcnt(0)
	v_lshlrev_b64 v[20:21], 4, v[80:81]
	v_ashrrev_i32_e32 v19, 31, v18
	s_delay_alu instid0(VALU_DEP_1) | instskip(NEXT) | instid1(VALU_DEP_1)
	v_lshlrev_b64 v[18:19], 4, v[18:19]
	v_add_co_u32 v20, vcc_lo, v20, v18
	s_delay_alu instid0(VALU_DEP_2) | instskip(SKIP_2) | instid1(VALU_DEP_4)
	v_add_co_ci_u32_e32 v21, vcc_lo, v21, v19, vcc_lo
	v_add_co_u32 v18, vcc_lo, 0, 0
	v_add_co_ci_u32_e32 v19, vcc_lo, 1, v64, vcc_lo
	v_add_co_u32 v81, vcc_lo, v48, v20
	s_delay_alu instid0(VALU_DEP_4)
	v_add_co_ci_u32_e32 v82, vcc_lo, v49, v21, vcc_lo
.LBB2_82:                               ;   Parent Loop BB2_32 Depth=1
                                        ; =>  This Inner Loop Header: Depth=2
	s_delay_alu instid0(VALU_DEP_3) | instskip(SKIP_4) | instid1(VALU_DEP_1)
	v_dual_mov_b32 v20, v18 :: v_dual_mov_b32 v21, v19
	v_add_nc_u32_e32 v80, v80, v1
	global_store_b128 v[81:82], v[18:21], off
	v_cmp_le_i32_e32 vcc_lo, s14, v80
	v_add_co_u32 v81, s8, v81, v70
	v_add_co_ci_u32_e64 v82, s8, v82, v71, s8
	s_or_b32 s17, vcc_lo, s17
	s_delay_alu instid0(SALU_CYCLE_1)
	s_and_not1_b32 exec_lo, exec_lo, s17
	s_cbranch_execnz .LBB2_82
.LBB2_83:                               ;   in Loop: Header=BB2_32 Depth=1
	s_or_b32 exec_lo, exec_lo, s9
	v_add_co_u32 v133, vcc_lo, v68, v26
	v_add_co_ci_u32_e32 v134, vcc_lo, v69, v27, vcc_lo
	v_add_co_u32 v80, vcc_lo, v22, 1
	v_add_co_ci_u32_e32 v81, vcc_lo, 0, v23, vcc_lo
	s_and_not1_b32 vcc_lo, exec_lo, s16
	s_cbranch_vccnz .LBB2_367
; %bb.84:                               ;   in Loop: Header=BB2_32 Depth=1
	v_add_co_u32 v82, vcc_lo, v115, v133
	v_add_co_ci_u32_e32 v83, vcc_lo, v116, v134, vcc_lo
	v_add_nc_u16 v135, v22, 1
	s_mov_b32 s17, 2
.LBB2_85:                               ;   Parent Loop BB2_32 Depth=1
                                        ; =>  This Loop Header: Depth=2
                                        ;       Child Loop BB2_92 Depth 3
                                        ;       Child Loop BB2_112 Depth 3
	;; [unrolled: 1-line block ×3, first 2 shown]
                                        ;         Child Loop BB2_138 Depth 4
                                        ;       Child Loop BB2_348 Depth 3
                                        ;       Child Loop BB2_365 Depth 3
	s_delay_alu instid0(SALU_CYCLE_1) | instskip(NEXT) | instid1(SALU_CYCLE_1)
	s_sub_i32 s8, s10, s17
	s_ashr_i32 s9, s8, 31
	s_delay_alu instid0(SALU_CYCLE_1) | instskip(NEXT) | instid1(SALU_CYCLE_1)
	s_lshl_b64 s[8:9], s[8:9], 2
	v_add_co_u32 v18, vcc_lo, v24, s8
	v_add_co_ci_u32_e32 v19, vcc_lo, s9, v25, vcc_lo
	s_waitcnt vmcnt(0) lgkmcnt(0)
	flat_load_b32 v20, v[18:19]
	s_and_saveexec_b32 s8, s1
	s_cbranch_execz .LBB2_103
; %bb.86:                               ;   in Loop: Header=BB2_85 Depth=2
	v_add_co_u32 v18, vcc_lo, v16, 1
	v_add_co_ci_u32_e32 v19, vcc_lo, 0, v17, vcc_lo
	v_add_co_u32 v21, vcc_lo, v54, 8
	v_add_co_ci_u32_e32 v22, vcc_lo, 0, v55, vcc_lo
	s_mov_b32 s9, exec_lo
	s_delay_alu instid0(VALU_DEP_1)
	v_cmpx_lt_u64_e64 v[21:22], v[18:19]
	s_cbranch_execz .LBB2_100
; %bb.87:                               ;   in Loop: Header=BB2_85 Depth=2
	s_sleep 1
	flat_load_b64 v[54:55], v[52:53] glc
	v_cmp_eq_u32_e32 vcc_lo, 0, v130
	s_and_saveexec_b32 s18, vcc_lo
	s_cbranch_execz .LBB2_99
; %bb.88:                               ;   in Loop: Header=BB2_85 Depth=2
	v_cndmask_b32_e64 v17, 0, 1, vcc_lo
	s_mov_b32 s19, 0
                                        ; implicit-def: $sgpr20
	s_branch .LBB2_92
.LBB2_89:                               ;   in Loop: Header=BB2_92 Depth=3
	s_or_b32 exec_lo, exec_lo, s23
	s_delay_alu instid0(SALU_CYCLE_1)
	s_or_not1_b32 s23, s24, exec_lo
.LBB2_90:                               ;   in Loop: Header=BB2_92 Depth=3
	s_or_b32 exec_lo, exec_lo, s22
	s_xor_b32 s22, s23, -1
	s_and_not1_b32 s20, s20, exec_lo
	s_and_b32 s22, s22, exec_lo
	s_delay_alu instid0(SALU_CYCLE_1)
	s_or_b32 s20, s20, s22
.LBB2_91:                               ;   in Loop: Header=BB2_92 Depth=3
	s_or_b32 exec_lo, exec_lo, s21
	s_delay_alu instid0(SALU_CYCLE_1) | instskip(NEXT) | instid1(SALU_CYCLE_1)
	s_and_b32 s21, exec_lo, s20
	s_or_b32 s19, s21, s19
	s_delay_alu instid0(SALU_CYCLE_1)
	s_and_not1_b32 exec_lo, exec_lo, s19
	s_cbranch_execz .LBB2_98
.LBB2_92:                               ;   Parent Loop BB2_32 Depth=1
                                        ;     Parent Loop BB2_85 Depth=2
                                        ; =>    This Inner Loop Header: Depth=3
	s_waitcnt vmcnt(0) lgkmcnt(0)
	v_add_co_u32 v21, vcc_lo, v54, 8
	v_add_co_ci_u32_e32 v22, vcc_lo, 0, v55, vcc_lo
	v_mov_b32_e32 v130, 0
	s_or_b32 s20, s20, exec_lo
	s_mov_b32 s21, exec_lo
	s_delay_alu instid0(VALU_DEP_2)
	v_cmpx_lt_u64_e64 v[21:22], v[18:19]
	s_cbranch_execz .LBB2_91
; %bb.93:                               ;   in Loop: Header=BB2_92 Depth=3
	s_sleep 1
	flat_load_b64 v[54:55], v[52:53] glc
	v_dual_mov_b32 v130, 0 :: v_dual_add_nc_u32 v17, 1, v17
	s_mov_b32 s23, -1
	s_mov_b32 s22, exec_lo
	s_delay_alu instid0(VALU_DEP_1)
	v_cmpx_eq_u32_e32 0x2710, v17
	s_cbranch_execz .LBB2_90
; %bb.94:                               ;   in Loop: Header=BB2_92 Depth=3
	s_cbranch_execnz .LBB2_645
; %bb.95:                               ;   in Loop: Header=BB2_92 Depth=3
	ds_load_b64 v[21:22], v0
	v_dual_mov_b32 v17, 0 :: v_dual_mov_b32 v130, 0
	s_mov_b32 s24, -1
	s_mov_b32 s23, exec_lo
	s_waitcnt vmcnt(0) lgkmcnt(0)
	s_waitcnt_vscnt null, 0x0
	flat_load_b32 v21, v[21:22] glc
	s_waitcnt vmcnt(0) lgkmcnt(0)
	buffer_gl1_inv
	buffer_gl0_inv
	v_cmpx_ne_u32_e32 0, v21
	s_cbranch_execz .LBB2_89
; %bb.96:                               ;   in Loop: Header=BB2_92 Depth=3
	ds_store_b32 v0, v21
	s_cbranch_execnz .LBB2_672
; %bb.97:                               ;   in Loop: Header=BB2_92 Depth=3
	v_mov_b32_e32 v130, 1
	s_xor_b32 s24, exec_lo, -1
	s_branch .LBB2_89
.LBB2_98:                               ;   in Loop: Header=BB2_85 Depth=2
	s_or_b32 exec_lo, exec_lo, s19
.LBB2_99:                               ;   in Loop: Header=BB2_85 Depth=2
	s_delay_alu instid0(SALU_CYCLE_1)
	s_or_b32 exec_lo, exec_lo, s18
.LBB2_100:                              ;   in Loop: Header=BB2_85 Depth=2
	s_delay_alu instid0(SALU_CYCLE_1)
	s_or_b32 exec_lo, exec_lo, s9
	s_and_saveexec_b32 s9, s2
	s_cbranch_execz .LBB2_102
; %bb.101:                              ;   in Loop: Header=BB2_85 Depth=2
	v_and_b32_e32 v64, 0x7ffffff8, v16
	v_and_b32_e32 v17, 7, v16
	s_delay_alu instid0(VALU_DEP_2) | instskip(NEXT) | instid1(VALU_DEP_2)
	v_cmp_eq_u64_e32 vcc_lo, 0x7ffffff8, v[64:65]
	v_mad_u64_u32 v[21:22], null, v17, 24, v[14:15]
	v_cndmask_b32_e64 v16, v132, s11, vcc_lo
	s_delay_alu instid0(VALU_DEP_1)
	v_ashrrev_i32_e32 v17, 31, v16
	flat_store_b64 v[21:22], v[16:17] offset:8 dlc
	s_waitcnt_vscnt null, 0x0
.LBB2_102:                              ;   in Loop: Header=BB2_85 Depth=2
	s_or_b32 exec_lo, exec_lo, s9
	v_dual_mov_b32 v16, v18 :: v_dual_mov_b32 v17, v19
.LBB2_103:                              ;   in Loop: Header=BB2_85 Depth=2
	s_or_b32 exec_lo, exec_lo, s8
	s_and_saveexec_b32 s8, s3
	s_cbranch_execz .LBB2_125
; %bb.104:                              ;   in Loop: Header=BB2_85 Depth=2
	s_and_saveexec_b32 s9, s4
	s_delay_alu instid0(SALU_CYCLE_1)
	s_xor_b32 s9, exec_lo, s9
	s_cbranch_execz .LBB2_122
; %bb.105:                              ;   in Loop: Header=BB2_85 Depth=2
	s_and_saveexec_b32 s18, s5
	s_cbranch_execz .LBB2_121
; %bb.106:                              ;   in Loop: Header=BB2_85 Depth=2
	s_mov_b32 s20, exec_lo
	s_mov_b32 s19, exec_lo
	v_mbcnt_lo_u32_b32 v18, s20, 0
	s_waitcnt vmcnt(0) lgkmcnt(0)
	s_waitcnt_vscnt null, 0x0
	buffer_gl1_inv
	buffer_gl0_inv
	v_cmpx_eq_u32_e32 0, v18
	s_cbranch_execz .LBB2_108
; %bb.107:                              ;   in Loop: Header=BB2_85 Depth=2
	s_bcnt1_i32_b32 s20, s20
	s_delay_alu instid0(SALU_CYCLE_1)
	v_mov_b32_e32 v64, s20
	ds_add_u64 v0, v[64:65]
	s_cbranch_execnz .LBB2_670
.LBB2_108:                              ;   in Loop: Header=BB2_85 Depth=2
	s_or_b32 exec_lo, exec_lo, s19
	s_cbranch_execnz .LBB2_664
; %bb.109:                              ;   in Loop: Header=BB2_85 Depth=2
	ds_load_b64 v[18:19], v0
	v_add_co_u32 v2, vcc_lo, v2, v101
	v_add_co_ci_u32_e32 v3, vcc_lo, v3, v112, vcc_lo
	s_mov_b32 s19, exec_lo
	s_waitcnt lgkmcnt(0)
	s_delay_alu instid0(VALU_DEP_1)
	v_cmpx_lt_u64_e64 v[18:19], v[2:3]
	s_cbranch_execz .LBB2_120
; %bb.110:                              ;   in Loop: Header=BB2_85 Depth=2
	s_mov_b32 s20, 0
	s_mov_b32 s23, 0
                                        ; implicit-def: $sgpr21
                                        ; implicit-def: $sgpr22
	s_branch .LBB2_112
.LBB2_111:                              ;   in Loop: Header=BB2_112 Depth=3
	s_or_b32 exec_lo, exec_lo, s26
	s_delay_alu instid0(SALU_CYCLE_1) | instskip(NEXT) | instid1(SALU_CYCLE_1)
	s_and_b32 s24, exec_lo, s25
	s_or_b32 s20, s24, s20
	s_and_not1_b32 s21, s21, exec_lo
	s_and_b32 s24, s22, exec_lo
	s_delay_alu instid0(SALU_CYCLE_1)
	s_or_b32 s21, s21, s24
	s_and_not1_b32 exec_lo, exec_lo, s20
	s_cbranch_execz .LBB2_118
.LBB2_112:                              ;   Parent Loop BB2_32 Depth=1
                                        ;     Parent Loop BB2_85 Depth=2
                                        ; =>    This Inner Loop Header: Depth=3
	s_add_i32 s23, s23, 1
                                        ; implicit-def: $sgpr25
	s_delay_alu instid0(SALU_CYCLE_1) | instskip(SKIP_1) | instid1(SALU_CYCLE_1)
	s_cmpk_lg_i32 s23, 0x2710
	s_cselect_b32 s24, -1, 0
	s_and_b32 vcc_lo, exec_lo, s24
	s_cbranch_vccz .LBB2_116
.LBB2_113:                              ;   in Loop: Header=BB2_112 Depth=3
	s_and_not1_b32 s22, s22, exec_lo
	s_and_b32 s26, s25, exec_lo
	s_mov_b32 s25, -1
	s_or_b32 s22, s22, s26
	s_and_saveexec_b32 s26, s24
	s_cbranch_execz .LBB2_111
; %bb.114:                              ;   in Loop: Header=BB2_112 Depth=3
	s_sleep 1
	s_cbranch_execnz .LBB2_688
; %bb.115:                              ;   in Loop: Header=BB2_112 Depth=3
	ds_load_b64 v[18:19], v0
	s_and_not1_b32 s22, s22, exec_lo
	s_waitcnt lgkmcnt(0)
	v_cmp_ge_u64_e32 vcc_lo, v[18:19], v[2:3]
	s_or_not1_b32 s25, vcc_lo, exec_lo
	s_branch .LBB2_111
.LBB2_116:                              ;   in Loop: Header=BB2_112 Depth=3
	s_cbranch_execnz .LBB2_692
; %bb.117:                              ;   in Loop: Header=BB2_112 Depth=3
	ds_load_b64 v[18:19], v0
	s_and_not1_b32 s24, s24, exec_lo
	s_mov_b32 s23, 0
	s_mov_b32 s25, -1
	s_waitcnt lgkmcnt(0)
	flat_load_b32 v18, v[18:19] glc
	s_waitcnt vmcnt(0) lgkmcnt(0)
	buffer_gl1_inv
	buffer_gl0_inv
	v_cmp_eq_u32_e32 vcc_lo, 0, v18
	s_and_b32 s26, vcc_lo, exec_lo
	s_delay_alu instid0(SALU_CYCLE_1)
	s_or_b32 s24, s24, s26
	s_branch .LBB2_113
.LBB2_118:                              ;   in Loop: Header=BB2_85 Depth=2
	s_or_b32 exec_lo, exec_lo, s20
	s_and_saveexec_b32 s20, s21
	s_delay_alu instid0(SALU_CYCLE_1)
	s_xor_b32 s20, exec_lo, s20
	s_cbranch_execz .LBB2_120
; %bb.119:                              ;   in Loop: Header=BB2_85 Depth=2
	ds_store_b32 v0, v129
	s_cbranch_execnz .LBB2_713
.LBB2_120:                              ;   in Loop: Header=BB2_85 Depth=2
	s_or_b32 exec_lo, exec_lo, s19
	;;#ASMSTART
	s_wakeup
	;;#ASMEND
.LBB2_121:                              ;   in Loop: Header=BB2_85 Depth=2
	s_or_b32 exec_lo, exec_lo, s18
.LBB2_122:                              ;   in Loop: Header=BB2_85 Depth=2
	s_and_not1_saveexec_b32 s9, s9
	s_cbranch_execz .LBB2_124
; %bb.123:                              ;   in Loop: Header=BB2_85 Depth=2
	s_waitcnt vmcnt(0) lgkmcnt(0)
	s_waitcnt_vscnt null, 0x0
	buffer_gl1_inv
	buffer_gl0_inv
	s_barrier
.LBB2_124:                              ;   in Loop: Header=BB2_85 Depth=2
	s_or_b32 exec_lo, exec_lo, s9
.LBB2_125:                              ;   in Loop: Header=BB2_85 Depth=2
	s_delay_alu instid0(SALU_CYCLE_1)
	s_or_b32 exec_lo, exec_lo, s8
	v_mov_b32_e32 v84, v4
	s_and_saveexec_b32 s18, s7
	s_cbranch_execz .LBB2_339
; %bb.126:                              ;   in Loop: Header=BB2_85 Depth=2
	v_dual_mov_b32 v149, v131 :: v_dual_and_b32 v18, 7, v34
	v_dual_mov_b32 v84, v80 :: v_dual_and_b32 v19, 7, v80
	s_waitcnt vmcnt(0) lgkmcnt(0)
	v_ashrrev_i32_e32 v22, 31, v20
	s_delay_alu instid0(VALU_DEP_3)
	v_mul_lo_u32 v18, v18, s14
	v_mad_u64_u32 v[86:87], null, v30, v20, v[82:83]
	v_mul_lo_u32 v21, v19, s14
	v_mul_lo_u32 v20, v100, v20
	v_mul_lo_u32 v23, v30, v22
	v_add_nc_u32_e32 v64, 1, v34
	s_mov_b32 s19, 0
	v_ashrrev_i32_e32 v19, 31, v18
	v_ashrrev_i32_e32 v22, 31, v21
	s_delay_alu instid0(VALU_DEP_4) | instskip(NEXT) | instid1(VALU_DEP_3)
	v_add3_u32 v87, v20, v87, v23
	v_lshlrev_b64 v[18:19], 4, v[18:19]
	s_delay_alu instid0(VALU_DEP_3) | instskip(NEXT) | instid1(VALU_DEP_2)
	v_lshlrev_b64 v[20:21], 4, v[21:22]
	v_add_co_u32 v144, vcc_lo, v32, v18
	s_delay_alu instid0(VALU_DEP_3) | instskip(NEXT) | instid1(VALU_DEP_3)
	v_add_co_ci_u32_e32 v145, vcc_lo, v33, v19, vcc_lo
	v_add_co_u32 v146, vcc_lo, v48, v20
	s_delay_alu instid0(VALU_DEP_4)
	v_add_co_ci_u32_e32 v147, vcc_lo, v49, v21, vcc_lo
	v_add_co_u32 v148, vcc_lo, 0, 0
	v_add_co_ci_u32_e32 v19, vcc_lo, 1, v84, vcc_lo
	v_mov_b32_e32 v84, v4
	s_branch .LBB2_130
.LBB2_127:                              ;   in Loop: Header=BB2_130 Depth=3
	s_or_b32 exec_lo, exec_lo, s8
	s_delay_alu instid0(VALU_DEP_1) | instskip(NEXT) | instid1(VALU_DEP_2)
	v_lshrrev_b32_e32 v151, 20, v151
	v_cmp_gt_i32_e32 vcc_lo, 16, v85
	v_min_i32_e32 v160, 15, v85
	v_lshrrev_b32_e32 v22, 24, v22
	s_delay_alu instid0(VALU_DEP_2) | instskip(NEXT) | instid1(VALU_DEP_2)
	v_dual_cndmask_b32 v151, 7, v151 :: v_dual_lshlrev_b32 v160, 3, v160
	v_and_b32_e32 v22, 0x80, v22
	s_delay_alu instid0(VALU_DEP_2) | instskip(SKIP_1) | instid1(VALU_DEP_2)
	v_or_b32_e32 v85, v85, v151
	v_and_b32_e32 v161, 7, v151
	v_cmp_ne_u32_e32 vcc_lo, 0, v85
	v_and_b32_e32 v160, 0xf8, v160
	s_delay_alu instid0(VALU_DEP_1) | instskip(NEXT) | instid1(VALU_DEP_1)
	v_or3_b32 v22, v22, v160, v161
	v_lshlrev_b32_e32 v22, 8, v22
	s_delay_alu instid0(VALU_DEP_1)
	v_cndmask_b32_e32 v85, 0, v22, vcc_lo
.LBB2_128:                              ;   in Loop: Header=BB2_130 Depth=3
	s_or_b32 exec_lo, exec_lo, s20
.LBB2_129:                              ;   in Loop: Header=BB2_130 Depth=3
	s_delay_alu instid0(SALU_CYCLE_1) | instskip(SKIP_4) | instid1(VALU_DEP_4)
	s_or_b32 exec_lo, exec_lo, s9
	v_and_b32_e32 v22, 0xff, v23
	v_lshlrev_b32_e32 v21, 8, v21
	v_or_b32_e32 v23, v85, v150
	v_add_co_u32 v86, vcc_lo, v86, v103
	v_lshlrev_b32_e32 v22, 16, v22
	v_sub_nc_u32_e32 v149, v149, v103
	v_add_co_ci_u32_e32 v87, vcc_lo, v87, v114, vcc_lo
	v_and_or_b32 v85, 0xff, v98, v99
	v_perm_b32 v18, v21, v18, 0xc0c0500
	v_lshl_or_b32 v20, v20, 24, v22
	v_lshlrev_b32_e32 v21, 16, v23
	v_add_co_u32 v22, vcc_lo, v146, v96
	v_add_co_ci_u32_e32 v23, vcc_lo, v147, v97, vcc_lo
	v_cmp_gt_i32_e32 vcc_lo, 1, v149
	v_or3_b32 v18, v20, v18, v148
	v_or3_b32 v20, v85, v21, v148
	v_dual_mov_b32 v21, v19 :: v_dual_add_nc_u32 v84, v84, v1
	s_or_b32 s19, vcc_lo, s19
	global_store_b128 v[22:23], v[18:21], off
	s_and_not1_b32 exec_lo, exec_lo, s19
	s_cbranch_execz .LBB2_338
.LBB2_130:                              ;   Parent Loop BB2_32 Depth=1
                                        ;     Parent Loop BB2_85 Depth=2
                                        ; =>    This Loop Header: Depth=3
                                        ;         Child Loop BB2_138 Depth 4
	v_dual_mov_b32 v21, v87 :: v_dual_and_b32 v20, -4, v86
	v_min_u32_e32 v22, 8, v149
	v_dual_mov_b32 v150, 0 :: v_dual_and_b32 v23, 3, v86
	v_mov_b32_e32 v151, 0
	flat_load_b32 v18, v[20:21] glc
	v_add_co_u32 v22, s8, v23, v22
	s_delay_alu instid0(VALU_DEP_1) | instskip(SKIP_1) | instid1(VALU_DEP_1)
	v_add_co_ci_u32_e64 v23, null, 0, 0, s8
	s_mov_b32 s8, exec_lo
	v_cmpx_lt_u64_e32 4, v[22:23]
	s_cbranch_execz .LBB2_132
; %bb.131:                              ;   in Loop: Header=BB2_130 Depth=3
	flat_load_b32 v151, v[20:21] offset:4 glc
.LBB2_132:                              ;   in Loop: Header=BB2_130 Depth=3
	s_or_b32 exec_lo, exec_lo, s8
	s_delay_alu instid0(SALU_CYCLE_1)
	s_mov_b32 s8, exec_lo
	v_cmpx_lt_u64_e32 8, v[22:23]
	s_cbranch_execz .LBB2_134
; %bb.133:                              ;   in Loop: Header=BB2_130 Depth=3
	flat_load_b32 v150, v[20:21] offset:8 glc
.LBB2_134:                              ;   in Loop: Header=BB2_130 Depth=3
	s_or_b32 exec_lo, exec_lo, s8
	v_ashrrev_i32_e32 v85, 31, v84
	s_delay_alu instid0(VALU_DEP_1) | instskip(NEXT) | instid1(VALU_DEP_1)
	v_lshlrev_b64 v[96:97], 4, v[84:85]
	v_add_co_u32 v98, vcc_lo, v144, v96
	s_delay_alu instid0(VALU_DEP_2)
	v_add_co_ci_u32_e32 v99, vcc_lo, v145, v97, vcc_lo
	v_cmp_eq_u32_e32 vcc_lo, 0, v130
	;;#ASMSTART
	global_load_b128 v[20:23], v[98:99], off glc slc dlc
s_waitcnt vmcnt(0)

	;;#ASMEND
	s_and_saveexec_b32 s20, vcc_lo
	s_cbranch_execz .LBB2_148
; %bb.135:                              ;   in Loop: Header=BB2_130 Depth=3
	v_cmp_ne_u32_e64 s8, v64, v21
	v_cmp_ne_u32_e64 s9, v64, v23
	v_mov_b32_e32 v130, 0
	s_delay_alu instid0(VALU_DEP_2) | instskip(NEXT) | instid1(SALU_CYCLE_1)
	s_or_b32 s8, s8, s9
	s_and_saveexec_b32 s9, s8
	s_cbranch_execz .LBB2_147
; %bb.136:                              ;   in Loop: Header=BB2_130 Depth=3
	v_cndmask_b32_e64 v85, 0, 1, vcc_lo
	s_mov_b32 s21, 0
                                        ; implicit-def: $sgpr22
                                        ; implicit-def: $sgpr23
	s_branch .LBB2_138
.LBB2_137:                              ;   in Loop: Header=BB2_138 Depth=4
	s_or_b32 exec_lo, exec_lo, s24
	s_delay_alu instid0(SALU_CYCLE_1) | instskip(NEXT) | instid1(SALU_CYCLE_1)
	s_and_b32 s8, exec_lo, s8
	s_or_b32 s21, s8, s21
	s_and_not1_b32 s8, s22, exec_lo
	s_and_b32 s22, s23, exec_lo
	s_delay_alu instid0(SALU_CYCLE_1)
	s_or_b32 s22, s8, s22
	s_and_not1_b32 exec_lo, exec_lo, s21
	s_cbranch_execz .LBB2_146
.LBB2_138:                              ;   Parent Loop BB2_32 Depth=1
                                        ;     Parent Loop BB2_85 Depth=2
                                        ;       Parent Loop BB2_130 Depth=3
                                        ; =>      This Inner Loop Header: Depth=4
	s_delay_alu instid0(VALU_DEP_1)
	v_dual_mov_b32 v130, 0 :: v_dual_add_nc_u32 v85, 1, v85
	s_mov_b32 s8, -1
	s_mov_b32 s25, -1
	s_mov_b32 s24, exec_lo
	;;#ASMSTART
	global_load_b128 v[20:23], v[98:99], off glc slc dlc
s_waitcnt vmcnt(0)

	;;#ASMEND
	v_cmpx_eq_u32_e32 0x2710, v85
	s_cbranch_execz .LBB2_144
; %bb.139:                              ;   in Loop: Header=BB2_138 Depth=4
	s_cbranch_execnz .LBB2_639
; %bb.140:                              ;   in Loop: Header=BB2_138 Depth=4
	ds_load_b64 v[160:161], v0
	v_dual_mov_b32 v85, 0 :: v_dual_mov_b32 v130, 0
	s_mov_b32 s26, -1
	s_mov_b32 s25, exec_lo
	s_waitcnt vmcnt(0) lgkmcnt(0)
	s_waitcnt_vscnt null, 0x0
	flat_load_b32 v160, v[160:161] glc
	s_waitcnt vmcnt(0) lgkmcnt(0)
	buffer_gl1_inv
	buffer_gl0_inv
	v_cmpx_ne_u32_e32 0, v160
	s_cbranch_execz .LBB2_143
; %bb.141:                              ;   in Loop: Header=BB2_138 Depth=4
	ds_store_b32 v0, v160
	s_cbranch_execnz .LBB2_647
; %bb.142:                              ;   in Loop: Header=BB2_138 Depth=4
	v_mov_b32_e32 v130, 1
	s_xor_b32 s26, exec_lo, -1
.LBB2_143:                              ;   in Loop: Header=BB2_138 Depth=4
	s_or_b32 exec_lo, exec_lo, s25
	s_delay_alu instid0(SALU_CYCLE_1)
	s_or_not1_b32 s25, s26, exec_lo
.LBB2_144:                              ;   in Loop: Header=BB2_138 Depth=4
	s_or_b32 exec_lo, exec_lo, s24
	s_delay_alu instid0(SALU_CYCLE_1)
	s_or_b32 s23, s23, exec_lo
	s_and_saveexec_b32 s24, s25
	s_cbranch_execz .LBB2_137
; %bb.145:                              ;   in Loop: Header=BB2_138 Depth=4
	v_cmp_eq_u32_e32 vcc_lo, v64, v21
	v_cmp_eq_u32_e64 s8, v64, v23
	s_and_not1_b32 s23, s23, exec_lo
	s_delay_alu instid0(VALU_DEP_1) | instskip(NEXT) | instid1(SALU_CYCLE_1)
	s_and_b32 s8, vcc_lo, s8
	s_or_not1_b32 s8, s8, exec_lo
	s_branch .LBB2_137
.LBB2_146:                              ;   in Loop: Header=BB2_130 Depth=3
	s_or_b32 exec_lo, exec_lo, s21
	s_xor_b32 s8, s22, -1
	s_delay_alu instid0(SALU_CYCLE_1) | instskip(NEXT) | instid1(SALU_CYCLE_1)
	s_and_saveexec_b32 s21, s8
	s_xor_b32 s8, exec_lo, s21
	s_delay_alu instid0(SALU_CYCLE_1) | instskip(NEXT) | instid1(SALU_CYCLE_1)
	s_and_not1_saveexec_b32 s8, s8
	s_or_b32 exec_lo, exec_lo, s8
.LBB2_147:                              ;   in Loop: Header=BB2_130 Depth=3
	s_delay_alu instid0(SALU_CYCLE_1)
	s_or_b32 exec_lo, exec_lo, s9
.LBB2_148:                              ;   in Loop: Header=BB2_130 Depth=3
	s_delay_alu instid0(SALU_CYCLE_1) | instskip(SKIP_3) | instid1(VALU_DEP_1)
	s_or_b32 exec_lo, exec_lo, s20
	v_and_b32_e32 v23, 0xff, v20
	s_mov_b32 s8, 0
	s_mov_b32 s20, exec_lo
                                        ; implicit-def: $sgpr9
	v_cmpx_lt_i16_e32 0x7f, v23
	s_xor_b32 s20, exec_lo, s20
	s_cbranch_execnz .LBB2_274
; %bb.149:                              ;   in Loop: Header=BB2_130 Depth=3
	s_or_saveexec_b32 s20, s20
	v_mov_b32_e32 v21, s9
	s_xor_b32 exec_lo, exec_lo, s20
	s_cbranch_execnz .LBB2_277
.LBB2_150:                              ;   in Loop: Header=BB2_130 Depth=3
	s_or_b32 exec_lo, exec_lo, s20
	s_and_saveexec_b32 s9, s8
	s_cbranch_execz .LBB2_152
.LBB2_151:                              ;   in Loop: Header=BB2_130 Depth=3
	v_and_b32_e32 v21, 7, v20
	v_bfe_u32 v98, v20, 3, 4
	v_lshlrev_b32_e32 v99, 24, v20
	s_delay_alu instid0(VALU_DEP_3) | instskip(NEXT) | instid1(VALU_DEP_3)
	v_clz_i32_u32_e32 v23, v21
	v_cmp_eq_u32_e32 vcc_lo, 0, v98
	s_delay_alu instid0(VALU_DEP_2) | instskip(NEXT) | instid1(VALU_DEP_1)
	v_min_u32_e32 v23, 32, v23
	v_subrev_nc_u32_e32 v85, 28, v23
	v_sub_nc_u32_e32 v23, 29, v23
	s_delay_alu instid0(VALU_DEP_2) | instskip(NEXT) | instid1(VALU_DEP_2)
	v_lshlrev_b32_e32 v85, v85, v20
	v_cndmask_b32_e32 v23, v98, v23, vcc_lo
	s_delay_alu instid0(VALU_DEP_2) | instskip(NEXT) | instid1(VALU_DEP_2)
	v_and_b32_e32 v85, 7, v85
	v_lshl_add_u32 v23, v23, 23, 0x3b800000
	s_delay_alu instid0(VALU_DEP_2) | instskip(SKIP_1) | instid1(VALU_DEP_2)
	v_cndmask_b32_e32 v21, v21, v85, vcc_lo
	v_and_b32_e32 v85, 0x80000000, v99
	v_lshlrev_b32_e32 v21, 20, v21
	s_delay_alu instid0(VALU_DEP_1)
	v_or3_b32 v21, v85, v23, v21
.LBB2_152:                              ;   in Loop: Header=BB2_130 Depth=3
	s_or_b32 exec_lo, exec_lo, s9
	v_lshlrev_b32_e32 v85, 3, v86
	s_mov_b32 s8, 0
	s_mov_b32 s20, exec_lo
                                        ; implicit-def: $sgpr9
	s_waitcnt vmcnt(0) lgkmcnt(0)
	s_delay_alu instid0(VALU_DEP_1) | instskip(NEXT) | instid1(VALU_DEP_1)
	v_alignbit_b32 v98, v151, v18, v85
	v_and_b32_e32 v23, 0xff, v98
	s_delay_alu instid0(VALU_DEP_1)
	v_cmpx_lt_i16_e32 0x7f, v23
	s_xor_b32 s20, exec_lo, s20
	s_cbranch_execnz .LBB2_278
; %bb.153:                              ;   in Loop: Header=BB2_130 Depth=3
	s_or_saveexec_b32 s20, s20
	v_mov_b32_e32 v18, s9
	s_xor_b32 exec_lo, exec_lo, s20
	s_cbranch_execnz .LBB2_281
.LBB2_154:                              ;   in Loop: Header=BB2_130 Depth=3
	s_or_b32 exec_lo, exec_lo, s20
	s_and_saveexec_b32 s9, s8
	s_cbranch_execz .LBB2_156
.LBB2_155:                              ;   in Loop: Header=BB2_130 Depth=3
	v_bfe_u32 v160, v98, 3, 4
	s_delay_alu instid0(VALU_DEP_1) | instskip(SKIP_1) | instid1(VALU_DEP_1)
	v_cmp_eq_u32_e32 vcc_lo, 0, v160
	v_and_b32_e32 v18, 7, v98
	v_clz_i32_u32_e32 v23, v18
	s_delay_alu instid0(VALU_DEP_1) | instskip(NEXT) | instid1(VALU_DEP_1)
	v_min_u32_e32 v23, 32, v23
	v_subrev_nc_u32_e32 v99, 28, v23
	v_sub_nc_u32_e32 v23, 29, v23
	s_delay_alu instid0(VALU_DEP_2) | instskip(NEXT) | instid1(VALU_DEP_2)
	v_lshlrev_b32_e32 v99, v99, v98
	v_cndmask_b32_e32 v23, v160, v23, vcc_lo
	s_delay_alu instid0(VALU_DEP_2) | instskip(SKIP_1) | instid1(VALU_DEP_3)
	v_and_b32_e32 v99, 7, v99
	v_lshlrev_b32_e32 v161, 24, v98
	v_lshl_add_u32 v23, v23, 23, 0x3b800000
	s_delay_alu instid0(VALU_DEP_2) | instskip(NEXT) | instid1(VALU_DEP_1)
	v_dual_cndmask_b32 v18, v18, v99 :: v_dual_and_b32 v99, 0x80000000, v161
	v_lshlrev_b32_e32 v18, 20, v18
	s_delay_alu instid0(VALU_DEP_1)
	v_or3_b32 v18, v99, v23, v18
.LBB2_156:                              ;   in Loop: Header=BB2_130 Depth=3
	s_or_b32 exec_lo, exec_lo, s9
	s_delay_alu instid0(VALU_DEP_1) | instskip(NEXT) | instid1(VALU_DEP_1)
	v_add_f32_e32 v21, v21, v18
	v_and_b32_e32 v18, 0x7f800000, v21
	s_delay_alu instid0(VALU_DEP_1)
	v_cmp_ne_u32_e32 vcc_lo, 0x7f800000, v18
	v_mov_b32_e32 v18, 0x80
	s_and_saveexec_b32 s9, vcc_lo
	s_cbranch_execz .LBB2_164
; %bb.157:                              ;   in Loop: Header=BB2_130 Depth=3
	v_mov_b32_e32 v18, 0
	s_mov_b32 s20, exec_lo
	v_cmpx_ne_u32_e32 0, v21
	s_cbranch_execz .LBB2_163
; %bb.158:                              ;   in Loop: Header=BB2_130 Depth=3
	v_bfe_u32 v18, v21, 23, 8
	v_and_b32_e32 v23, 0x7fffff, v21
	s_delay_alu instid0(VALU_DEP_2) | instskip(SKIP_1) | instid1(VALU_DEP_3)
	v_sub_nc_u32_e32 v99, 0x78, v18
	v_cmp_gt_u32_e32 vcc_lo, 0x79, v18
	v_or_b32_e32 v160, 0x800000, v23
	s_delay_alu instid0(VALU_DEP_3) | instskip(SKIP_2) | instid1(VALU_DEP_3)
	v_cndmask_b32_e32 v99, 0, v99, vcc_lo
	v_cmp_eq_u32_e32 vcc_lo, 0, v18
	v_add_nc_u32_e32 v18, 0xffffff89, v18
	v_cndmask_b32_e64 v99, v99, 0x77, vcc_lo
	v_cndmask_b32_e32 v23, v160, v23, vcc_lo
	s_delay_alu instid0(VALU_DEP_3) | instskip(NEXT) | instid1(VALU_DEP_3)
	v_cndmask_b32_e64 v18, v18, 0xffffff8a, vcc_lo
	v_lshl_add_u32 v160, 0x100000, v99, -1
	s_delay_alu instid0(VALU_DEP_3) | instskip(SKIP_1) | instid1(VALU_DEP_4)
	v_lshrrev_b32_e32 v161, v99, v23
	v_lshlrev_b32_e64 v163, v99, 0x80000
	v_add_nc_u32_e32 v99, v99, v18
	s_delay_alu instid0(VALU_DEP_4) | instskip(NEXT) | instid1(VALU_DEP_4)
	v_and_b32_e32 v23, v160, v23
	v_bfe_u32 v162, v161, 20, 1
	s_delay_alu instid0(VALU_DEP_2) | instskip(NEXT) | instid1(VALU_DEP_2)
	v_cmp_eq_u32_e64 s8, v23, v163
	v_add_nc_u32_e32 v160, -1, v162
	s_delay_alu instid0(VALU_DEP_1) | instskip(SKIP_2) | instid1(VALU_DEP_2)
	v_cndmask_b32_e64 v23, 0, v160, s8
	v_lshrrev_b32_e32 v160, 23, v161
	s_mov_b32 s8, exec_lo
	v_add_nc_u32_e32 v23, v23, v161
	s_delay_alu instid0(VALU_DEP_2) | instskip(NEXT) | instid1(VALU_DEP_2)
	v_xor_b32_e32 v160, 1, v160
	v_and_b32_e32 v18, 0xfffff, v23
	s_delay_alu instid0(VALU_DEP_1) | instskip(NEXT) | instid1(VALU_DEP_3)
	v_add_nc_u32_e32 v23, v18, v161
                                        ; implicit-def: $vgpr18
	v_cmpx_ne_u32_e64 v99, v160
	s_xor_b32 s8, exec_lo, s8
; %bb.159:                              ;   in Loop: Header=BB2_130 Depth=3
	s_delay_alu instid0(VALU_DEP_2) | instskip(SKIP_2) | instid1(VALU_DEP_2)
	v_cmp_lt_u32_e32 vcc_lo, 0xffffff, v23
	v_sub_nc_u32_e32 v18, v99, v160
	v_cndmask_b32_e64 v99, 0, 1, vcc_lo
	v_add_co_ci_u32_e32 v18, vcc_lo, 0, v18, vcc_lo
	s_delay_alu instid0(VALU_DEP_2)
	v_lshrrev_b32_e32 v23, v99, v23
; %bb.160:                              ;   in Loop: Header=BB2_130 Depth=3
	s_and_not1_saveexec_b32 s8, s8
; %bb.161:                              ;   in Loop: Header=BB2_130 Depth=3
	s_delay_alu instid0(VALU_DEP_1)
	v_bfe_u32 v18, v23, 23, 1
; %bb.162:                              ;   in Loop: Header=BB2_130 Depth=3
	s_or_b32 exec_lo, exec_lo, s8
	v_lshrrev_b32_e32 v23, 20, v23
	s_delay_alu instid0(VALU_DEP_2) | instskip(SKIP_2) | instid1(VALU_DEP_4)
	v_cmp_gt_i32_e32 vcc_lo, 16, v18
	v_lshrrev_b32_e32 v21, 24, v21
	v_min_i32_e32 v99, 15, v18
	v_cndmask_b32_e32 v23, 7, v23, vcc_lo
	s_delay_alu instid0(VALU_DEP_3) | instskip(NEXT) | instid1(VALU_DEP_3)
	v_and_b32_e32 v21, 0x80, v21
	v_lshlrev_b32_e32 v99, 3, v99
	s_delay_alu instid0(VALU_DEP_3) | instskip(SKIP_1) | instid1(VALU_DEP_2)
	v_and_b32_e32 v160, 7, v23
	v_or_b32_e32 v18, v18, v23
	v_or3_b32 v21, v99, v21, v160
	s_delay_alu instid0(VALU_DEP_2) | instskip(NEXT) | instid1(VALU_DEP_2)
	v_cmp_ne_u32_e32 vcc_lo, 0, v18
	v_cndmask_b32_e32 v18, 0, v21, vcc_lo
.LBB2_163:                              ;   in Loop: Header=BB2_130 Depth=3
	s_or_b32 exec_lo, exec_lo, s20
.LBB2_164:                              ;   in Loop: Header=BB2_130 Depth=3
	s_delay_alu instid0(SALU_CYCLE_1) | instskip(SKIP_3) | instid1(VALU_DEP_1)
	s_or_b32 exec_lo, exec_lo, s9
	v_lshrrev_b16 v23, 8, v20
	s_mov_b32 s8, 0
	s_mov_b32 s20, exec_lo
                                        ; implicit-def: $sgpr9
	v_cmpx_lt_i16_e32 0x7f, v23
	s_xor_b32 s20, exec_lo, s20
	s_cbranch_execnz .LBB2_282
; %bb.165:                              ;   in Loop: Header=BB2_130 Depth=3
	s_or_saveexec_b32 s20, s20
	v_mov_b32_e32 v21, s9
	s_xor_b32 exec_lo, exec_lo, s20
	s_cbranch_execnz .LBB2_285
.LBB2_166:                              ;   in Loop: Header=BB2_130 Depth=3
	s_or_b32 exec_lo, exec_lo, s20
	s_and_saveexec_b32 s9, s8
	s_cbranch_execz .LBB2_168
.LBB2_167:                              ;   in Loop: Header=BB2_130 Depth=3
	v_and_b32_e32 v21, 0xffff, v23
	v_lshlrev_b32_e32 v23, 24, v23
	s_delay_alu instid0(VALU_DEP_2) | instskip(NEXT) | instid1(VALU_DEP_2)
	v_and_b32_e32 v99, 7, v21
	v_and_b32_e32 v23, 0x80000000, v23
	s_delay_alu instid0(VALU_DEP_2) | instskip(NEXT) | instid1(VALU_DEP_1)
	v_clz_i32_u32_e32 v160, v99
	v_min_u32_e32 v160, 32, v160
	s_delay_alu instid0(VALU_DEP_1) | instskip(SKIP_1) | instid1(VALU_DEP_2)
	v_subrev_nc_u32_e32 v161, 28, v160
	v_sub_nc_u32_e32 v160, 29, v160
	v_lshlrev_b32_e32 v161, v161, v21
	v_bfe_u32 v21, v21, 3, 4
	s_delay_alu instid0(VALU_DEP_2) | instskip(NEXT) | instid1(VALU_DEP_2)
	v_and_b32_e32 v161, 7, v161
	v_cmp_eq_u32_e32 vcc_lo, 0, v21
	v_cndmask_b32_e32 v21, v21, v160, vcc_lo
	s_delay_alu instid0(VALU_DEP_3) | instskip(NEXT) | instid1(VALU_DEP_2)
	v_cndmask_b32_e32 v99, v99, v161, vcc_lo
	v_lshl_add_u32 v21, v21, 23, 0x3b800000
	s_delay_alu instid0(VALU_DEP_2) | instskip(NEXT) | instid1(VALU_DEP_1)
	v_lshlrev_b32_e32 v99, 20, v99
	v_or3_b32 v21, v23, v21, v99
.LBB2_168:                              ;   in Loop: Header=BB2_130 Depth=3
	s_or_b32 exec_lo, exec_lo, s9
	v_lshrrev_b16 v23, 8, v98
	s_mov_b32 s8, 0
	s_mov_b32 s20, exec_lo
                                        ; implicit-def: $sgpr9
	s_delay_alu instid0(VALU_DEP_1)
	v_cmpx_lt_i16_e32 0x7f, v23
	s_xor_b32 s20, exec_lo, s20
	s_cbranch_execnz .LBB2_286
; %bb.169:                              ;   in Loop: Header=BB2_130 Depth=3
	s_or_saveexec_b32 s20, s20
	v_mov_b32_e32 v99, s9
	s_xor_b32 exec_lo, exec_lo, s20
	s_cbranch_execnz .LBB2_289
.LBB2_170:                              ;   in Loop: Header=BB2_130 Depth=3
	s_or_b32 exec_lo, exec_lo, s20
	s_and_saveexec_b32 s9, s8
	s_cbranch_execz .LBB2_172
.LBB2_171:                              ;   in Loop: Header=BB2_130 Depth=3
	v_and_b32_e32 v99, 0xffff, v23
	v_lshlrev_b32_e32 v23, 24, v23
	s_delay_alu instid0(VALU_DEP_2) | instskip(NEXT) | instid1(VALU_DEP_2)
	v_and_b32_e32 v160, 7, v99
	v_and_b32_e32 v23, 0x80000000, v23
	s_delay_alu instid0(VALU_DEP_2) | instskip(NEXT) | instid1(VALU_DEP_1)
	v_clz_i32_u32_e32 v161, v160
	v_min_u32_e32 v161, 32, v161
	s_delay_alu instid0(VALU_DEP_1) | instskip(SKIP_1) | instid1(VALU_DEP_2)
	v_subrev_nc_u32_e32 v162, 28, v161
	v_sub_nc_u32_e32 v161, 29, v161
	v_lshlrev_b32_e32 v162, v162, v99
	v_bfe_u32 v99, v99, 3, 4
	s_delay_alu instid0(VALU_DEP_2) | instskip(NEXT) | instid1(VALU_DEP_2)
	v_and_b32_e32 v162, 7, v162
	v_cmp_eq_u32_e32 vcc_lo, 0, v99
	s_delay_alu instid0(VALU_DEP_2) | instskip(NEXT) | instid1(VALU_DEP_1)
	v_dual_cndmask_b32 v99, v99, v161 :: v_dual_cndmask_b32 v160, v160, v162
	v_lshl_add_u32 v99, v99, 23, 0x3b800000
	s_delay_alu instid0(VALU_DEP_2) | instskip(NEXT) | instid1(VALU_DEP_1)
	v_lshlrev_b32_e32 v160, 20, v160
	v_or3_b32 v99, v23, v99, v160
.LBB2_172:                              ;   in Loop: Header=BB2_130 Depth=3
	s_or_b32 exec_lo, exec_lo, s9
	s_delay_alu instid0(VALU_DEP_1) | instskip(NEXT) | instid1(VALU_DEP_1)
	v_add_f32_e32 v23, v21, v99
	v_and_b32_e32 v21, 0x7f800000, v23
	s_delay_alu instid0(VALU_DEP_1)
	v_cmp_ne_u32_e32 vcc_lo, 0x7f800000, v21
	v_mov_b32_e32 v21, 0x80
	s_and_saveexec_b32 s9, vcc_lo
	s_cbranch_execz .LBB2_180
; %bb.173:                              ;   in Loop: Header=BB2_130 Depth=3
	v_mov_b32_e32 v21, 0
	s_mov_b32 s20, exec_lo
	v_cmpx_ne_u32_e32 0, v23
	s_cbranch_execz .LBB2_179
; %bb.174:                              ;   in Loop: Header=BB2_130 Depth=3
	v_bfe_u32 v21, v23, 23, 8
	s_delay_alu instid0(VALU_DEP_1) | instskip(SKIP_1) | instid1(VALU_DEP_2)
	v_sub_nc_u32_e32 v160, 0x78, v21
	v_cmp_gt_u32_e32 vcc_lo, 0x79, v21
	v_dual_cndmask_b32 v160, 0, v160 :: v_dual_and_b32 v99, 0x7fffff, v23
	s_delay_alu instid0(VALU_DEP_1) | instskip(SKIP_2) | instid1(VALU_DEP_4)
	v_or_b32_e32 v161, 0x800000, v99
	v_cmp_eq_u32_e32 vcc_lo, 0, v21
	v_add_nc_u32_e32 v21, 0xffffff89, v21
	v_cndmask_b32_e64 v160, v160, 0x77, vcc_lo
	s_delay_alu instid0(VALU_DEP_2) | instskip(SKIP_1) | instid1(VALU_DEP_3)
	v_cndmask_b32_e64 v21, v21, 0xffffff8a, vcc_lo
	v_cndmask_b32_e32 v99, v161, v99, vcc_lo
	v_lshl_add_u32 v161, 0x100000, v160, -1
	v_lshlrev_b32_e64 v164, v160, 0x80000
	s_delay_alu instid0(VALU_DEP_3) | instskip(SKIP_1) | instid1(VALU_DEP_4)
	v_lshrrev_b32_e32 v162, v160, v99
	v_add_nc_u32_e32 v160, v160, v21
	v_and_b32_e32 v99, v161, v99
	s_delay_alu instid0(VALU_DEP_3) | instskip(NEXT) | instid1(VALU_DEP_2)
	v_bfe_u32 v163, v162, 20, 1
	v_cmp_eq_u32_e64 s8, v99, v164
	s_delay_alu instid0(VALU_DEP_2) | instskip(NEXT) | instid1(VALU_DEP_1)
	v_add_nc_u32_e32 v161, -1, v163
	v_cndmask_b32_e64 v99, 0, v161, s8
	v_lshrrev_b32_e32 v161, 23, v162
	s_mov_b32 s8, exec_lo
	s_delay_alu instid0(VALU_DEP_2) | instskip(NEXT) | instid1(VALU_DEP_2)
	v_add_nc_u32_e32 v99, v99, v162
	v_xor_b32_e32 v161, 1, v161
	s_delay_alu instid0(VALU_DEP_2) | instskip(NEXT) | instid1(VALU_DEP_1)
	v_and_b32_e32 v21, 0xfffff, v99
	v_add_nc_u32_e32 v99, v21, v162
                                        ; implicit-def: $vgpr21
	s_delay_alu instid0(VALU_DEP_3)
	v_cmpx_ne_u32_e64 v160, v161
	s_xor_b32 s8, exec_lo, s8
; %bb.175:                              ;   in Loop: Header=BB2_130 Depth=3
	s_delay_alu instid0(VALU_DEP_2) | instskip(SKIP_2) | instid1(VALU_DEP_2)
	v_cmp_lt_u32_e32 vcc_lo, 0xffffff, v99
	v_sub_nc_u32_e32 v21, v160, v161
	v_cndmask_b32_e64 v160, 0, 1, vcc_lo
	v_add_co_ci_u32_e32 v21, vcc_lo, 0, v21, vcc_lo
	s_delay_alu instid0(VALU_DEP_2)
	v_lshrrev_b32_e32 v99, v160, v99
; %bb.176:                              ;   in Loop: Header=BB2_130 Depth=3
	s_and_not1_saveexec_b32 s8, s8
; %bb.177:                              ;   in Loop: Header=BB2_130 Depth=3
	s_delay_alu instid0(VALU_DEP_1)
	v_bfe_u32 v21, v99, 23, 1
; %bb.178:                              ;   in Loop: Header=BB2_130 Depth=3
	s_or_b32 exec_lo, exec_lo, s8
	v_lshrrev_b32_e32 v99, 20, v99
	s_delay_alu instid0(VALU_DEP_2) | instskip(SKIP_2) | instid1(VALU_DEP_4)
	v_cmp_gt_i32_e32 vcc_lo, 16, v21
	v_lshrrev_b32_e32 v23, 24, v23
	v_min_i32_e32 v160, 15, v21
	v_cndmask_b32_e32 v99, 7, v99, vcc_lo
	s_delay_alu instid0(VALU_DEP_3) | instskip(NEXT) | instid1(VALU_DEP_3)
	v_and_b32_e32 v23, 0x80, v23
	v_lshlrev_b32_e32 v160, 3, v160
	s_delay_alu instid0(VALU_DEP_3) | instskip(SKIP_1) | instid1(VALU_DEP_2)
	v_and_b32_e32 v161, 7, v99
	v_or_b32_e32 v21, v21, v99
	v_or3_b32 v23, v160, v23, v161
	s_delay_alu instid0(VALU_DEP_2) | instskip(NEXT) | instid1(VALU_DEP_2)
	v_cmp_ne_u32_e32 vcc_lo, 0, v21
	v_cndmask_b32_e32 v21, 0, v23, vcc_lo
.LBB2_179:                              ;   in Loop: Header=BB2_130 Depth=3
	s_or_b32 exec_lo, exec_lo, s20
.LBB2_180:                              ;   in Loop: Header=BB2_130 Depth=3
	s_delay_alu instid0(SALU_CYCLE_1) | instskip(SKIP_3) | instid1(VALU_DEP_1)
	s_or_b32 exec_lo, exec_lo, s9
	v_lshrrev_b32_e32 v99, 16, v20
	s_mov_b32 s8, 0
	s_mov_b32 s20, exec_lo
                                        ; implicit-def: $sgpr9
	v_and_b32_e32 v160, 0xff, v99
	s_delay_alu instid0(VALU_DEP_1)
	v_cmpx_lt_i16_e64 0x7f, v160
	s_xor_b32 s20, exec_lo, s20
	s_cbranch_execnz .LBB2_290
; %bb.181:                              ;   in Loop: Header=BB2_130 Depth=3
	s_or_saveexec_b32 s20, s20
	v_mov_b32_e32 v23, s9
	s_xor_b32 exec_lo, exec_lo, s20
	s_cbranch_execnz .LBB2_293
.LBB2_182:                              ;   in Loop: Header=BB2_130 Depth=3
	s_or_b32 exec_lo, exec_lo, s20
	s_and_saveexec_b32 s9, s8
	s_cbranch_execz .LBB2_184
.LBB2_183:                              ;   in Loop: Header=BB2_130 Depth=3
	v_bfe_u32 v23, v20, 16, 3
	s_delay_alu instid0(VALU_DEP_1) | instskip(NEXT) | instid1(VALU_DEP_1)
	v_clz_i32_u32_e32 v160, v23
	v_min_u32_e32 v160, 32, v160
	s_delay_alu instid0(VALU_DEP_1) | instskip(SKIP_1) | instid1(VALU_DEP_2)
	v_subrev_nc_u32_e32 v161, 28, v160
	v_sub_nc_u32_e32 v160, 29, v160
	v_lshlrev_b32_e32 v99, v161, v99
	v_bfe_u32 v161, v20, 19, 4
	s_delay_alu instid0(VALU_DEP_1) | instskip(NEXT) | instid1(VALU_DEP_3)
	v_cmp_eq_u32_e32 vcc_lo, 0, v161
	v_dual_cndmask_b32 v160, v161, v160 :: v_dual_and_b32 v99, 7, v99
	s_delay_alu instid0(VALU_DEP_1) | instskip(NEXT) | instid1(VALU_DEP_2)
	v_dual_cndmask_b32 v23, v23, v99 :: v_dual_lshlrev_b32 v162, 8, v20
	v_lshl_add_u32 v160, v160, 23, 0x3b800000
	s_delay_alu instid0(VALU_DEP_2) | instskip(NEXT) | instid1(VALU_DEP_3)
	v_and_b32_e32 v99, 0x80000000, v162
	v_lshlrev_b32_e32 v23, 20, v23
	s_delay_alu instid0(VALU_DEP_1)
	v_or3_b32 v23, v99, v160, v23
.LBB2_184:                              ;   in Loop: Header=BB2_130 Depth=3
	s_or_b32 exec_lo, exec_lo, s9
	v_lshrrev_b32_e32 v99, 16, v98
	s_mov_b32 s8, 0
	s_mov_b32 s20, exec_lo
                                        ; implicit-def: $sgpr9
	s_delay_alu instid0(VALU_DEP_1) | instskip(NEXT) | instid1(VALU_DEP_1)
	v_and_b32_e32 v161, 0xff, v99
	v_cmpx_lt_i16_e64 0x7f, v161
	s_xor_b32 s20, exec_lo, s20
	s_cbranch_execnz .LBB2_294
; %bb.185:                              ;   in Loop: Header=BB2_130 Depth=3
	s_or_saveexec_b32 s20, s20
	v_mov_b32_e32 v160, s9
	s_xor_b32 exec_lo, exec_lo, s20
	s_cbranch_execnz .LBB2_297
.LBB2_186:                              ;   in Loop: Header=BB2_130 Depth=3
	s_or_b32 exec_lo, exec_lo, s20
	s_and_saveexec_b32 s9, s8
	s_cbranch_execz .LBB2_188
.LBB2_187:                              ;   in Loop: Header=BB2_130 Depth=3
	v_bfe_u32 v160, v98, 16, 3
	v_lshlrev_b32_e32 v163, 8, v98
	s_delay_alu instid0(VALU_DEP_2) | instskip(NEXT) | instid1(VALU_DEP_1)
	v_clz_i32_u32_e32 v161, v160
	v_min_u32_e32 v161, 32, v161
	s_delay_alu instid0(VALU_DEP_1) | instskip(SKIP_1) | instid1(VALU_DEP_2)
	v_subrev_nc_u32_e32 v162, 28, v161
	v_sub_nc_u32_e32 v161, 29, v161
	v_lshlrev_b32_e32 v99, v162, v99
	v_bfe_u32 v162, v98, 19, 4
	s_delay_alu instid0(VALU_DEP_2) | instskip(NEXT) | instid1(VALU_DEP_2)
	v_and_b32_e32 v99, 7, v99
	v_cmp_eq_u32_e32 vcc_lo, 0, v162
	v_cndmask_b32_e32 v161, v162, v161, vcc_lo
	s_delay_alu instid0(VALU_DEP_3) | instskip(SKIP_1) | instid1(VALU_DEP_3)
	v_cndmask_b32_e32 v99, v160, v99, vcc_lo
	v_and_b32_e32 v160, 0x80000000, v163
	v_lshl_add_u32 v161, v161, 23, 0x3b800000
	s_delay_alu instid0(VALU_DEP_3) | instskip(NEXT) | instid1(VALU_DEP_1)
	v_lshlrev_b32_e32 v99, 20, v99
	v_or3_b32 v160, v160, v161, v99
.LBB2_188:                              ;   in Loop: Header=BB2_130 Depth=3
	s_or_b32 exec_lo, exec_lo, s9
	s_delay_alu instid0(VALU_DEP_1) | instskip(NEXT) | instid1(VALU_DEP_1)
	v_add_f32_e32 v99, v23, v160
	v_and_b32_e32 v23, 0x7f800000, v99
	s_delay_alu instid0(VALU_DEP_1)
	v_cmp_ne_u32_e32 vcc_lo, 0x7f800000, v23
	v_mov_b32_e32 v23, 0x80
	s_and_saveexec_b32 s9, vcc_lo
	s_cbranch_execz .LBB2_196
; %bb.189:                              ;   in Loop: Header=BB2_130 Depth=3
	v_mov_b32_e32 v23, 0
	s_mov_b32 s20, exec_lo
	v_cmpx_ne_u32_e32 0, v99
	s_cbranch_execz .LBB2_195
; %bb.190:                              ;   in Loop: Header=BB2_130 Depth=3
	v_bfe_u32 v23, v99, 23, 8
	s_delay_alu instid0(VALU_DEP_1) | instskip(SKIP_1) | instid1(VALU_DEP_2)
	v_sub_nc_u32_e32 v161, 0x78, v23
	v_cmp_gt_u32_e32 vcc_lo, 0x79, v23
	v_dual_cndmask_b32 v161, 0, v161 :: v_dual_and_b32 v160, 0x7fffff, v99
	s_delay_alu instid0(VALU_DEP_1) | instskip(SKIP_2) | instid1(VALU_DEP_4)
	v_or_b32_e32 v162, 0x800000, v160
	v_cmp_eq_u32_e32 vcc_lo, 0, v23
	v_add_nc_u32_e32 v23, 0xffffff89, v23
	v_cndmask_b32_e64 v161, v161, 0x77, vcc_lo
	s_delay_alu instid0(VALU_DEP_4) | instskip(NEXT) | instid1(VALU_DEP_3)
	v_cndmask_b32_e32 v160, v162, v160, vcc_lo
	v_cndmask_b32_e64 v23, v23, 0xffffff8a, vcc_lo
	s_delay_alu instid0(VALU_DEP_3) | instskip(NEXT) | instid1(VALU_DEP_3)
	v_lshl_add_u32 v162, 0x100000, v161, -1
	v_lshrrev_b32_e32 v163, v161, v160
	v_lshlrev_b32_e64 v165, v161, 0x80000
	s_delay_alu instid0(VALU_DEP_4) | instskip(NEXT) | instid1(VALU_DEP_4)
	v_add_nc_u32_e32 v161, v161, v23
	v_and_b32_e32 v160, v162, v160
	s_delay_alu instid0(VALU_DEP_4) | instskip(NEXT) | instid1(VALU_DEP_2)
	v_bfe_u32 v164, v163, 20, 1
	v_cmp_eq_u32_e64 s8, v160, v165
	s_delay_alu instid0(VALU_DEP_2) | instskip(NEXT) | instid1(VALU_DEP_1)
	v_add_nc_u32_e32 v162, -1, v164
	v_cndmask_b32_e64 v160, 0, v162, s8
	v_lshrrev_b32_e32 v162, 23, v163
	s_mov_b32 s8, exec_lo
	s_delay_alu instid0(VALU_DEP_2) | instskip(NEXT) | instid1(VALU_DEP_2)
	v_add_nc_u32_e32 v160, v160, v163
	v_xor_b32_e32 v162, 1, v162
	s_delay_alu instid0(VALU_DEP_2) | instskip(NEXT) | instid1(VALU_DEP_1)
	v_and_b32_e32 v23, 0xfffff, v160
	v_add_nc_u32_e32 v160, v23, v163
                                        ; implicit-def: $vgpr23
	s_delay_alu instid0(VALU_DEP_3)
	v_cmpx_ne_u32_e64 v161, v162
	s_xor_b32 s8, exec_lo, s8
; %bb.191:                              ;   in Loop: Header=BB2_130 Depth=3
	s_delay_alu instid0(VALU_DEP_2) | instskip(SKIP_2) | instid1(VALU_DEP_2)
	v_cmp_lt_u32_e32 vcc_lo, 0xffffff, v160
	v_sub_nc_u32_e32 v23, v161, v162
	v_cndmask_b32_e64 v161, 0, 1, vcc_lo
	v_add_co_ci_u32_e32 v23, vcc_lo, 0, v23, vcc_lo
	s_delay_alu instid0(VALU_DEP_2)
	v_lshrrev_b32_e32 v160, v161, v160
; %bb.192:                              ;   in Loop: Header=BB2_130 Depth=3
	s_and_not1_saveexec_b32 s8, s8
; %bb.193:                              ;   in Loop: Header=BB2_130 Depth=3
	s_delay_alu instid0(VALU_DEP_1)
	v_bfe_u32 v23, v160, 23, 1
; %bb.194:                              ;   in Loop: Header=BB2_130 Depth=3
	s_or_b32 exec_lo, exec_lo, s8
	v_lshrrev_b32_e32 v160, 20, v160
	s_delay_alu instid0(VALU_DEP_2) | instskip(SKIP_2) | instid1(VALU_DEP_2)
	v_cmp_gt_i32_e32 vcc_lo, 16, v23
	v_lshrrev_b32_e32 v99, 24, v99
	v_min_i32_e32 v161, 15, v23
	v_dual_cndmask_b32 v160, 7, v160 :: v_dual_and_b32 v99, 0x80, v99
	s_delay_alu instid0(VALU_DEP_2) | instskip(NEXT) | instid1(VALU_DEP_2)
	v_lshlrev_b32_e32 v161, 3, v161
	v_or_b32_e32 v23, v23, v160
	s_delay_alu instid0(VALU_DEP_1) | instskip(SKIP_1) | instid1(VALU_DEP_1)
	v_cmp_ne_u32_e32 vcc_lo, 0, v23
	v_and_b32_e32 v162, 7, v160
	v_or3_b32 v99, v161, v99, v162
	s_delay_alu instid0(VALU_DEP_1)
	v_cndmask_b32_e32 v23, 0, v99, vcc_lo
.LBB2_195:                              ;   in Loop: Header=BB2_130 Depth=3
	s_or_b32 exec_lo, exec_lo, s20
.LBB2_196:                              ;   in Loop: Header=BB2_130 Depth=3
	s_delay_alu instid0(SALU_CYCLE_1) | instskip(SKIP_3) | instid1(VALU_DEP_1)
	s_or_b32 exec_lo, exec_lo, s9
	v_lshrrev_b32_e32 v160, 24, v20
	s_mov_b32 s8, 0
	s_mov_b32 s20, exec_lo
                                        ; implicit-def: $sgpr9
	v_cmpx_lt_i16_e64 0x7f, v160
	s_xor_b32 s20, exec_lo, s20
	s_cbranch_execnz .LBB2_298
; %bb.197:                              ;   in Loop: Header=BB2_130 Depth=3
	s_or_saveexec_b32 s20, s20
	v_mov_b32_e32 v99, s9
	s_xor_b32 exec_lo, exec_lo, s20
	s_cbranch_execnz .LBB2_301
.LBB2_198:                              ;   in Loop: Header=BB2_130 Depth=3
	s_or_b32 exec_lo, exec_lo, s20
	s_and_saveexec_b32 s9, s8
	s_cbranch_execz .LBB2_200
.LBB2_199:                              ;   in Loop: Header=BB2_130 Depth=3
	v_bfe_u32 v99, v20, 24, 3
	s_delay_alu instid0(VALU_DEP_1) | instskip(NEXT) | instid1(VALU_DEP_1)
	v_clz_i32_u32_e32 v161, v99
	v_min_u32_e32 v161, 32, v161
	s_delay_alu instid0(VALU_DEP_1) | instskip(SKIP_1) | instid1(VALU_DEP_2)
	v_subrev_nc_u32_e32 v162, 28, v161
	v_sub_nc_u32_e32 v161, 29, v161
	v_lshlrev_b32_e32 v160, v162, v160
	v_bfe_u32 v162, v20, 27, 4
	v_and_b32_e32 v20, 0x80000000, v20
	s_delay_alu instid0(VALU_DEP_2) | instskip(NEXT) | instid1(VALU_DEP_4)
	v_cmp_eq_u32_e32 vcc_lo, 0, v162
	v_dual_cndmask_b32 v161, v162, v161 :: v_dual_and_b32 v160, 7, v160
	s_delay_alu instid0(VALU_DEP_1) | instskip(NEXT) | instid1(VALU_DEP_2)
	v_cndmask_b32_e32 v99, v99, v160, vcc_lo
	v_lshl_add_u32 v160, v161, 23, 0x3b800000
	s_delay_alu instid0(VALU_DEP_2) | instskip(NEXT) | instid1(VALU_DEP_1)
	v_lshlrev_b32_e32 v99, 20, v99
	v_or3_b32 v99, v20, v160, v99
.LBB2_200:                              ;   in Loop: Header=BB2_130 Depth=3
	s_or_b32 exec_lo, exec_lo, s9
	v_lshrrev_b32_e32 v20, 24, v98
	s_mov_b32 s8, 0
	s_mov_b32 s20, exec_lo
                                        ; implicit-def: $sgpr9
	s_delay_alu instid0(VALU_DEP_1)
	v_cmpx_lt_i16_e32 0x7f, v20
	s_xor_b32 s20, exec_lo, s20
	s_cbranch_execnz .LBB2_302
; %bb.201:                              ;   in Loop: Header=BB2_130 Depth=3
	s_or_saveexec_b32 s20, s20
	v_mov_b32_e32 v160, s9
	s_xor_b32 exec_lo, exec_lo, s20
	s_cbranch_execnz .LBB2_305
.LBB2_202:                              ;   in Loop: Header=BB2_130 Depth=3
	s_or_b32 exec_lo, exec_lo, s20
	s_and_saveexec_b32 s9, s8
	s_cbranch_execz .LBB2_204
.LBB2_203:                              ;   in Loop: Header=BB2_130 Depth=3
	v_bfe_u32 v160, v98, 24, 3
	s_delay_alu instid0(VALU_DEP_1) | instskip(NEXT) | instid1(VALU_DEP_1)
	v_clz_i32_u32_e32 v161, v160
	v_min_u32_e32 v161, 32, v161
	s_delay_alu instid0(VALU_DEP_1) | instskip(SKIP_1) | instid1(VALU_DEP_2)
	v_subrev_nc_u32_e32 v162, 28, v161
	v_sub_nc_u32_e32 v161, 29, v161
	v_lshlrev_b32_e32 v20, v162, v20
	v_bfe_u32 v162, v98, 27, 4
	v_and_b32_e32 v98, 0x80000000, v98
	s_delay_alu instid0(VALU_DEP_2) | instskip(NEXT) | instid1(VALU_DEP_4)
	v_cmp_eq_u32_e32 vcc_lo, 0, v162
	v_dual_cndmask_b32 v161, v162, v161 :: v_dual_and_b32 v20, 7, v20
	s_delay_alu instid0(VALU_DEP_1) | instskip(NEXT) | instid1(VALU_DEP_2)
	v_cndmask_b32_e32 v20, v160, v20, vcc_lo
	v_lshl_add_u32 v160, v161, 23, 0x3b800000
	s_delay_alu instid0(VALU_DEP_2) | instskip(NEXT) | instid1(VALU_DEP_1)
	v_lshlrev_b32_e32 v20, 20, v20
	v_or3_b32 v160, v98, v160, v20
.LBB2_204:                              ;   in Loop: Header=BB2_130 Depth=3
	s_or_b32 exec_lo, exec_lo, s9
	s_delay_alu instid0(VALU_DEP_1) | instskip(NEXT) | instid1(VALU_DEP_1)
	v_add_f32_e32 v98, v99, v160
	v_and_b32_e32 v20, 0x7f800000, v98
	s_delay_alu instid0(VALU_DEP_1)
	v_cmp_ne_u32_e32 vcc_lo, 0x7f800000, v20
	v_mov_b32_e32 v20, 0x80
	s_and_saveexec_b32 s9, vcc_lo
	s_cbranch_execz .LBB2_212
; %bb.205:                              ;   in Loop: Header=BB2_130 Depth=3
	v_mov_b32_e32 v20, 0
	s_mov_b32 s20, exec_lo
	v_cmpx_ne_u32_e32 0, v98
	s_cbranch_execz .LBB2_211
; %bb.206:                              ;   in Loop: Header=BB2_130 Depth=3
	v_bfe_u32 v20, v98, 23, 8
	s_delay_alu instid0(VALU_DEP_1) | instskip(SKIP_1) | instid1(VALU_DEP_2)
	v_sub_nc_u32_e32 v160, 0x78, v20
	v_cmp_gt_u32_e32 vcc_lo, 0x79, v20
	v_dual_cndmask_b32 v160, 0, v160 :: v_dual_and_b32 v99, 0x7fffff, v98
	s_delay_alu instid0(VALU_DEP_1) | instskip(SKIP_2) | instid1(VALU_DEP_4)
	v_or_b32_e32 v161, 0x800000, v99
	v_cmp_eq_u32_e32 vcc_lo, 0, v20
	v_add_nc_u32_e32 v20, 0xffffff89, v20
	v_cndmask_b32_e64 v160, v160, 0x77, vcc_lo
	s_delay_alu instid0(VALU_DEP_4) | instskip(NEXT) | instid1(VALU_DEP_3)
	v_cndmask_b32_e32 v99, v161, v99, vcc_lo
	v_cndmask_b32_e64 v20, v20, 0xffffff8a, vcc_lo
	s_delay_alu instid0(VALU_DEP_3) | instskip(NEXT) | instid1(VALU_DEP_3)
	v_lshl_add_u32 v161, 0x100000, v160, -1
	v_lshrrev_b32_e32 v162, v160, v99
	v_lshlrev_b32_e64 v164, v160, 0x80000
	s_delay_alu instid0(VALU_DEP_4) | instskip(NEXT) | instid1(VALU_DEP_4)
	v_add_nc_u32_e32 v160, v160, v20
	v_and_b32_e32 v99, v161, v99
	s_delay_alu instid0(VALU_DEP_4) | instskip(NEXT) | instid1(VALU_DEP_2)
	v_bfe_u32 v163, v162, 20, 1
	v_cmp_eq_u32_e64 s8, v99, v164
	s_delay_alu instid0(VALU_DEP_2) | instskip(NEXT) | instid1(VALU_DEP_1)
	v_add_nc_u32_e32 v161, -1, v163
	v_cndmask_b32_e64 v99, 0, v161, s8
	v_lshrrev_b32_e32 v161, 23, v162
	s_mov_b32 s8, exec_lo
	s_delay_alu instid0(VALU_DEP_2) | instskip(NEXT) | instid1(VALU_DEP_2)
	v_add_nc_u32_e32 v99, v99, v162
	v_xor_b32_e32 v161, 1, v161
	s_delay_alu instid0(VALU_DEP_2) | instskip(NEXT) | instid1(VALU_DEP_1)
	v_and_b32_e32 v20, 0xfffff, v99
	v_add_nc_u32_e32 v99, v20, v162
                                        ; implicit-def: $vgpr20
	s_delay_alu instid0(VALU_DEP_3)
	v_cmpx_ne_u32_e64 v160, v161
	s_xor_b32 s8, exec_lo, s8
; %bb.207:                              ;   in Loop: Header=BB2_130 Depth=3
	s_delay_alu instid0(VALU_DEP_2) | instskip(SKIP_2) | instid1(VALU_DEP_2)
	v_cmp_lt_u32_e32 vcc_lo, 0xffffff, v99
	v_sub_nc_u32_e32 v20, v160, v161
	v_cndmask_b32_e64 v160, 0, 1, vcc_lo
	v_add_co_ci_u32_e32 v20, vcc_lo, 0, v20, vcc_lo
	s_delay_alu instid0(VALU_DEP_2)
	v_lshrrev_b32_e32 v99, v160, v99
; %bb.208:                              ;   in Loop: Header=BB2_130 Depth=3
	s_and_not1_saveexec_b32 s8, s8
; %bb.209:                              ;   in Loop: Header=BB2_130 Depth=3
	s_delay_alu instid0(VALU_DEP_1)
	v_bfe_u32 v20, v99, 23, 1
; %bb.210:                              ;   in Loop: Header=BB2_130 Depth=3
	s_or_b32 exec_lo, exec_lo, s8
	v_lshrrev_b32_e32 v99, 20, v99
	s_delay_alu instid0(VALU_DEP_2) | instskip(SKIP_2) | instid1(VALU_DEP_2)
	v_cmp_gt_i32_e32 vcc_lo, 16, v20
	v_lshrrev_b32_e32 v98, 24, v98
	v_min_i32_e32 v160, 15, v20
	v_dual_cndmask_b32 v99, 7, v99 :: v_dual_and_b32 v98, 0x80, v98
	s_delay_alu instid0(VALU_DEP_2) | instskip(NEXT) | instid1(VALU_DEP_2)
	v_lshlrev_b32_e32 v160, 3, v160
	v_or_b32_e32 v20, v20, v99
	s_delay_alu instid0(VALU_DEP_1) | instskip(SKIP_1) | instid1(VALU_DEP_1)
	v_cmp_ne_u32_e32 vcc_lo, 0, v20
	v_and_b32_e32 v161, 7, v99
	v_or3_b32 v98, v160, v98, v161
	s_delay_alu instid0(VALU_DEP_1)
	v_cndmask_b32_e32 v20, 0, v98, vcc_lo
.LBB2_211:                              ;   in Loop: Header=BB2_130 Depth=3
	s_or_b32 exec_lo, exec_lo, s20
.LBB2_212:                              ;   in Loop: Header=BB2_130 Depth=3
	s_delay_alu instid0(SALU_CYCLE_1) | instskip(SKIP_3) | instid1(VALU_DEP_1)
	s_or_b32 exec_lo, exec_lo, s9
	v_and_b32_e32 v99, 0xff, v22
	s_mov_b32 s8, 0
	s_mov_b32 s20, exec_lo
                                        ; implicit-def: $sgpr9
	v_cmpx_lt_i16_e32 0x7f, v99
	s_xor_b32 s20, exec_lo, s20
	s_cbranch_execnz .LBB2_306
; %bb.213:                              ;   in Loop: Header=BB2_130 Depth=3
	s_or_saveexec_b32 s20, s20
	v_mov_b32_e32 v98, s9
	s_xor_b32 exec_lo, exec_lo, s20
	s_cbranch_execnz .LBB2_309
.LBB2_214:                              ;   in Loop: Header=BB2_130 Depth=3
	s_or_b32 exec_lo, exec_lo, s20
	s_and_saveexec_b32 s9, s8
	s_cbranch_execz .LBB2_216
.LBB2_215:                              ;   in Loop: Header=BB2_130 Depth=3
	v_bfe_u32 v161, v22, 3, 4
	v_lshlrev_b32_e32 v162, 24, v22
	s_delay_alu instid0(VALU_DEP_2) | instskip(SKIP_1) | instid1(VALU_DEP_1)
	v_cmp_eq_u32_e32 vcc_lo, 0, v161
	v_and_b32_e32 v98, 7, v22
	v_clz_i32_u32_e32 v99, v98
	s_delay_alu instid0(VALU_DEP_1) | instskip(NEXT) | instid1(VALU_DEP_1)
	v_min_u32_e32 v99, 32, v99
	v_subrev_nc_u32_e32 v160, 28, v99
	v_sub_nc_u32_e32 v99, 29, v99
	s_delay_alu instid0(VALU_DEP_1) | instskip(NEXT) | instid1(VALU_DEP_1)
	v_dual_cndmask_b32 v99, v161, v99 :: v_dual_lshlrev_b32 v160, v160, v22
	v_and_b32_e32 v160, 7, v160
	s_delay_alu instid0(VALU_DEP_2) | instskip(NEXT) | instid1(VALU_DEP_2)
	v_lshl_add_u32 v99, v99, 23, 0x3b800000
	v_cndmask_b32_e32 v98, v98, v160, vcc_lo
	v_and_b32_e32 v160, 0x80000000, v162
	s_delay_alu instid0(VALU_DEP_2) | instskip(NEXT) | instid1(VALU_DEP_1)
	v_lshlrev_b32_e32 v98, 20, v98
	v_or3_b32 v98, v160, v99, v98
.LBB2_216:                              ;   in Loop: Header=BB2_130 Depth=3
	s_or_b32 exec_lo, exec_lo, s9
	v_alignbit_b32 v85, v150, v151, v85
	v_mov_b32_e32 v99, v22
	s_mov_b32 s8, 0
	s_mov_b32 s20, exec_lo
                                        ; implicit-def: $sgpr9
	s_delay_alu instid0(VALU_DEP_2) | instskip(NEXT) | instid1(VALU_DEP_1)
	v_and_b32_e32 v151, 0xff, v85
	v_cmpx_lt_i16_e64 0x7f, v151
	s_xor_b32 s20, exec_lo, s20
	s_cbranch_execnz .LBB2_310
; %bb.217:                              ;   in Loop: Header=BB2_130 Depth=3
	s_or_saveexec_b32 s20, s20
	v_mov_b32_e32 v150, s9
	s_xor_b32 exec_lo, exec_lo, s20
	s_cbranch_execnz .LBB2_313
.LBB2_218:                              ;   in Loop: Header=BB2_130 Depth=3
	s_or_b32 exec_lo, exec_lo, s20
	s_and_saveexec_b32 s9, s8
	s_cbranch_execz .LBB2_220
.LBB2_219:                              ;   in Loop: Header=BB2_130 Depth=3
	v_bfe_u32 v161, v85, 3, 4
	v_lshlrev_b32_e32 v162, 24, v85
	s_delay_alu instid0(VALU_DEP_2) | instskip(SKIP_1) | instid1(VALU_DEP_1)
	v_cmp_eq_u32_e32 vcc_lo, 0, v161
	v_and_b32_e32 v150, 7, v85
	v_clz_i32_u32_e32 v151, v150
	s_delay_alu instid0(VALU_DEP_1) | instskip(NEXT) | instid1(VALU_DEP_1)
	v_min_u32_e32 v151, 32, v151
	v_subrev_nc_u32_e32 v160, 28, v151
	v_sub_nc_u32_e32 v151, 29, v151
	s_delay_alu instid0(VALU_DEP_1) | instskip(NEXT) | instid1(VALU_DEP_1)
	v_dual_cndmask_b32 v151, v161, v151 :: v_dual_lshlrev_b32 v160, v160, v85
	v_and_b32_e32 v160, 7, v160
	s_delay_alu instid0(VALU_DEP_2) | instskip(NEXT) | instid1(VALU_DEP_2)
	v_lshl_add_u32 v151, v151, 23, 0x3b800000
	v_cndmask_b32_e32 v150, v150, v160, vcc_lo
	v_and_b32_e32 v160, 0x80000000, v162
	s_delay_alu instid0(VALU_DEP_2) | instskip(NEXT) | instid1(VALU_DEP_1)
	v_lshlrev_b32_e32 v150, 20, v150
	v_or3_b32 v150, v160, v151, v150
.LBB2_220:                              ;   in Loop: Header=BB2_130 Depth=3
	s_or_b32 exec_lo, exec_lo, s9
	s_delay_alu instid0(VALU_DEP_1) | instskip(NEXT) | instid1(VALU_DEP_1)
	v_add_f32_e32 v150, v98, v150
	v_and_b32_e32 v98, 0x7f800000, v150
	s_delay_alu instid0(VALU_DEP_1)
	v_cmp_ne_u32_e32 vcc_lo, 0x7f800000, v98
	v_mov_b32_e32 v98, 0x80
	s_and_saveexec_b32 s9, vcc_lo
	s_cbranch_execz .LBB2_228
; %bb.221:                              ;   in Loop: Header=BB2_130 Depth=3
	v_mov_b32_e32 v98, 0
	s_mov_b32 s20, exec_lo
	v_cmpx_ne_u32_e32 0, v150
	s_cbranch_execz .LBB2_227
; %bb.222:                              ;   in Loop: Header=BB2_130 Depth=3
	v_bfe_u32 v98, v150, 23, 8
	s_delay_alu instid0(VALU_DEP_1) | instskip(SKIP_1) | instid1(VALU_DEP_2)
	v_sub_nc_u32_e32 v160, 0x78, v98
	v_cmp_gt_u32_e32 vcc_lo, 0x79, v98
	v_dual_cndmask_b32 v160, 0, v160 :: v_dual_and_b32 v151, 0x7fffff, v150
	s_delay_alu instid0(VALU_DEP_1) | instskip(SKIP_2) | instid1(VALU_DEP_4)
	v_or_b32_e32 v161, 0x800000, v151
	v_cmp_eq_u32_e32 vcc_lo, 0, v98
	v_add_nc_u32_e32 v98, 0xffffff89, v98
	v_cndmask_b32_e64 v160, v160, 0x77, vcc_lo
	s_delay_alu instid0(VALU_DEP_4) | instskip(NEXT) | instid1(VALU_DEP_3)
	v_cndmask_b32_e32 v151, v161, v151, vcc_lo
	v_cndmask_b32_e64 v98, v98, 0xffffff8a, vcc_lo
	s_delay_alu instid0(VALU_DEP_3) | instskip(NEXT) | instid1(VALU_DEP_3)
	v_lshl_add_u32 v161, 0x100000, v160, -1
	v_lshrrev_b32_e32 v162, v160, v151
	v_lshlrev_b32_e64 v164, v160, 0x80000
	s_delay_alu instid0(VALU_DEP_4) | instskip(NEXT) | instid1(VALU_DEP_4)
	v_add_nc_u32_e32 v160, v160, v98
	v_and_b32_e32 v151, v161, v151
	s_delay_alu instid0(VALU_DEP_4) | instskip(NEXT) | instid1(VALU_DEP_2)
	v_bfe_u32 v163, v162, 20, 1
	v_cmp_eq_u32_e64 s8, v151, v164
	s_delay_alu instid0(VALU_DEP_2) | instskip(NEXT) | instid1(VALU_DEP_1)
	v_add_nc_u32_e32 v161, -1, v163
	v_cndmask_b32_e64 v151, 0, v161, s8
	v_lshrrev_b32_e32 v161, 23, v162
	s_mov_b32 s8, exec_lo
	s_delay_alu instid0(VALU_DEP_2) | instskip(NEXT) | instid1(VALU_DEP_2)
	v_add_nc_u32_e32 v151, v151, v162
	v_xor_b32_e32 v161, 1, v161
	s_delay_alu instid0(VALU_DEP_2) | instskip(NEXT) | instid1(VALU_DEP_1)
	v_and_b32_e32 v98, 0xfffff, v151
	v_add_nc_u32_e32 v151, v98, v162
                                        ; implicit-def: $vgpr98
	s_delay_alu instid0(VALU_DEP_3)
	v_cmpx_ne_u32_e64 v160, v161
	s_xor_b32 s8, exec_lo, s8
; %bb.223:                              ;   in Loop: Header=BB2_130 Depth=3
	s_delay_alu instid0(VALU_DEP_2) | instskip(SKIP_2) | instid1(VALU_DEP_2)
	v_cmp_lt_u32_e32 vcc_lo, 0xffffff, v151
	v_sub_nc_u32_e32 v98, v160, v161
	v_cndmask_b32_e64 v160, 0, 1, vcc_lo
	v_add_co_ci_u32_e32 v98, vcc_lo, 0, v98, vcc_lo
	s_delay_alu instid0(VALU_DEP_2)
	v_lshrrev_b32_e32 v151, v160, v151
; %bb.224:                              ;   in Loop: Header=BB2_130 Depth=3
	s_and_not1_saveexec_b32 s8, s8
; %bb.225:                              ;   in Loop: Header=BB2_130 Depth=3
	s_delay_alu instid0(VALU_DEP_1)
	v_bfe_u32 v98, v151, 23, 1
; %bb.226:                              ;   in Loop: Header=BB2_130 Depth=3
	s_or_b32 exec_lo, exec_lo, s8
	v_lshrrev_b32_e32 v151, 20, v151
	s_delay_alu instid0(VALU_DEP_2) | instskip(SKIP_2) | instid1(VALU_DEP_2)
	v_cmp_gt_i32_e32 vcc_lo, 16, v98
	v_lshrrev_b32_e32 v150, 24, v150
	v_min_i32_e32 v160, 15, v98
	v_dual_cndmask_b32 v151, 7, v151 :: v_dual_and_b32 v150, 0x80, v150
	s_delay_alu instid0(VALU_DEP_2) | instskip(NEXT) | instid1(VALU_DEP_2)
	v_lshlrev_b32_e32 v160, 3, v160
	v_or_b32_e32 v98, v98, v151
	s_delay_alu instid0(VALU_DEP_1) | instskip(SKIP_1) | instid1(VALU_DEP_1)
	v_cmp_ne_u32_e32 vcc_lo, 0, v98
	v_and_b32_e32 v161, 7, v151
	v_or3_b32 v150, v160, v150, v161
	s_delay_alu instid0(VALU_DEP_1)
	v_cndmask_b32_e32 v98, 0, v150, vcc_lo
.LBB2_227:                              ;   in Loop: Header=BB2_130 Depth=3
	s_or_b32 exec_lo, exec_lo, s20
.LBB2_228:                              ;   in Loop: Header=BB2_130 Depth=3
	s_delay_alu instid0(SALU_CYCLE_1) | instskip(SKIP_3) | instid1(VALU_DEP_1)
	s_or_b32 exec_lo, exec_lo, s9
	v_lshrrev_b16 v150, 8, v99
	s_mov_b32 s8, 0
	s_mov_b32 s20, exec_lo
                                        ; implicit-def: $sgpr9
	v_cmpx_lt_i16_e64 0x7f, v150
	s_xor_b32 s20, exec_lo, s20
	s_cbranch_execnz .LBB2_314
; %bb.229:                              ;   in Loop: Header=BB2_130 Depth=3
	s_or_saveexec_b32 s20, s20
	v_mov_b32_e32 v99, s9
	s_xor_b32 exec_lo, exec_lo, s20
	s_cbranch_execnz .LBB2_317
.LBB2_230:                              ;   in Loop: Header=BB2_130 Depth=3
	s_or_b32 exec_lo, exec_lo, s20
	s_and_saveexec_b32 s9, s8
	s_cbranch_execz .LBB2_232
.LBB2_231:                              ;   in Loop: Header=BB2_130 Depth=3
	v_and_b32_e32 v99, 0xffff, v150
	s_delay_alu instid0(VALU_DEP_1) | instskip(NEXT) | instid1(VALU_DEP_1)
	v_and_b32_e32 v151, 7, v99
	v_clz_i32_u32_e32 v160, v151
	s_delay_alu instid0(VALU_DEP_1) | instskip(NEXT) | instid1(VALU_DEP_1)
	v_min_u32_e32 v160, 32, v160
	v_subrev_nc_u32_e32 v161, 28, v160
	v_sub_nc_u32_e32 v160, 29, v160
	s_delay_alu instid0(VALU_DEP_2) | instskip(SKIP_1) | instid1(VALU_DEP_2)
	v_lshlrev_b32_e32 v161, v161, v99
	v_bfe_u32 v99, v99, 3, 4
	v_and_b32_e32 v161, 7, v161
	s_delay_alu instid0(VALU_DEP_2) | instskip(SKIP_1) | instid1(VALU_DEP_1)
	v_cmp_eq_u32_e32 vcc_lo, 0, v99
	v_dual_cndmask_b32 v99, v99, v160 :: v_dual_lshlrev_b32 v150, 24, v150
	v_dual_cndmask_b32 v151, v151, v161 :: v_dual_and_b32 v150, 0x80000000, v150
	s_delay_alu instid0(VALU_DEP_2) | instskip(NEXT) | instid1(VALU_DEP_2)
	v_lshl_add_u32 v99, v99, 23, 0x3b800000
	v_lshlrev_b32_e32 v151, 20, v151
	s_delay_alu instid0(VALU_DEP_1)
	v_or3_b32 v99, v150, v99, v151
.LBB2_232:                              ;   in Loop: Header=BB2_130 Depth=3
	s_or_b32 exec_lo, exec_lo, s9
	v_lshrrev_b16 v150, 8, v85
	s_mov_b32 s8, 0
	s_mov_b32 s20, exec_lo
                                        ; implicit-def: $sgpr9
	s_delay_alu instid0(VALU_DEP_1)
	v_cmpx_lt_i16_e64 0x7f, v150
	s_xor_b32 s20, exec_lo, s20
	s_cbranch_execnz .LBB2_318
; %bb.233:                              ;   in Loop: Header=BB2_130 Depth=3
	s_or_saveexec_b32 s20, s20
	v_mov_b32_e32 v151, s9
	s_xor_b32 exec_lo, exec_lo, s20
	s_cbranch_execnz .LBB2_321
.LBB2_234:                              ;   in Loop: Header=BB2_130 Depth=3
	s_or_b32 exec_lo, exec_lo, s20
	s_and_saveexec_b32 s9, s8
	s_cbranch_execz .LBB2_236
.LBB2_235:                              ;   in Loop: Header=BB2_130 Depth=3
	v_and_b32_e32 v151, 0xffff, v150
	v_lshlrev_b32_e32 v150, 24, v150
	s_delay_alu instid0(VALU_DEP_2) | instskip(NEXT) | instid1(VALU_DEP_2)
	v_and_b32_e32 v160, 7, v151
	v_and_b32_e32 v150, 0x80000000, v150
	s_delay_alu instid0(VALU_DEP_2) | instskip(NEXT) | instid1(VALU_DEP_1)
	v_clz_i32_u32_e32 v161, v160
	v_min_u32_e32 v161, 32, v161
	s_delay_alu instid0(VALU_DEP_1) | instskip(SKIP_1) | instid1(VALU_DEP_2)
	v_subrev_nc_u32_e32 v162, 28, v161
	v_sub_nc_u32_e32 v161, 29, v161
	v_lshlrev_b32_e32 v162, v162, v151
	v_bfe_u32 v151, v151, 3, 4
	s_delay_alu instid0(VALU_DEP_2) | instskip(NEXT) | instid1(VALU_DEP_2)
	v_and_b32_e32 v162, 7, v162
	v_cmp_eq_u32_e32 vcc_lo, 0, v151
	s_delay_alu instid0(VALU_DEP_2) | instskip(NEXT) | instid1(VALU_DEP_1)
	v_dual_cndmask_b32 v151, v151, v161 :: v_dual_cndmask_b32 v160, v160, v162
	v_lshl_add_u32 v151, v151, 23, 0x3b800000
	s_delay_alu instid0(VALU_DEP_2) | instskip(NEXT) | instid1(VALU_DEP_1)
	v_lshlrev_b32_e32 v160, 20, v160
	v_or3_b32 v151, v150, v151, v160
.LBB2_236:                              ;   in Loop: Header=BB2_130 Depth=3
	s_or_b32 exec_lo, exec_lo, s9
	s_delay_alu instid0(VALU_DEP_1) | instskip(NEXT) | instid1(VALU_DEP_1)
	v_add_f32_e32 v150, v99, v151
	v_and_b32_e32 v99, 0x7f800000, v150
	s_delay_alu instid0(VALU_DEP_1)
	v_cmp_ne_u32_e32 vcc_lo, 0x7f800000, v99
	v_mov_b32_e32 v99, 0x8000
	s_and_saveexec_b32 s9, vcc_lo
	s_cbranch_execz .LBB2_244
; %bb.237:                              ;   in Loop: Header=BB2_130 Depth=3
	v_mov_b32_e32 v99, 0
	s_mov_b32 s20, exec_lo
	v_cmpx_ne_u32_e32 0, v150
	s_cbranch_execz .LBB2_243
; %bb.238:                              ;   in Loop: Header=BB2_130 Depth=3
	v_bfe_u32 v99, v150, 23, 8
	s_delay_alu instid0(VALU_DEP_1) | instskip(SKIP_1) | instid1(VALU_DEP_2)
	v_sub_nc_u32_e32 v160, 0x78, v99
	v_cmp_gt_u32_e32 vcc_lo, 0x79, v99
	v_dual_cndmask_b32 v160, 0, v160 :: v_dual_and_b32 v151, 0x7fffff, v150
	s_delay_alu instid0(VALU_DEP_1) | instskip(SKIP_2) | instid1(VALU_DEP_4)
	v_or_b32_e32 v161, 0x800000, v151
	v_cmp_eq_u32_e32 vcc_lo, 0, v99
	v_add_nc_u32_e32 v99, 0xffffff89, v99
	v_cndmask_b32_e64 v160, v160, 0x77, vcc_lo
	s_delay_alu instid0(VALU_DEP_4) | instskip(NEXT) | instid1(VALU_DEP_3)
	v_cndmask_b32_e32 v151, v161, v151, vcc_lo
	v_cndmask_b32_e64 v99, v99, 0xffffff8a, vcc_lo
	s_delay_alu instid0(VALU_DEP_3) | instskip(NEXT) | instid1(VALU_DEP_3)
	v_lshl_add_u32 v161, 0x100000, v160, -1
	v_lshrrev_b32_e32 v162, v160, v151
	v_lshlrev_b32_e64 v164, v160, 0x80000
	s_delay_alu instid0(VALU_DEP_4) | instskip(NEXT) | instid1(VALU_DEP_4)
	v_add_nc_u32_e32 v160, v160, v99
	v_and_b32_e32 v151, v161, v151
	s_delay_alu instid0(VALU_DEP_4) | instskip(NEXT) | instid1(VALU_DEP_2)
	v_bfe_u32 v163, v162, 20, 1
	v_cmp_eq_u32_e64 s8, v151, v164
	s_delay_alu instid0(VALU_DEP_2) | instskip(NEXT) | instid1(VALU_DEP_1)
	v_add_nc_u32_e32 v161, -1, v163
	v_cndmask_b32_e64 v151, 0, v161, s8
	v_lshrrev_b32_e32 v161, 23, v162
	s_mov_b32 s8, exec_lo
	s_delay_alu instid0(VALU_DEP_2) | instskip(NEXT) | instid1(VALU_DEP_2)
	v_add_nc_u32_e32 v151, v151, v162
	v_xor_b32_e32 v161, 1, v161
	s_delay_alu instid0(VALU_DEP_2) | instskip(NEXT) | instid1(VALU_DEP_1)
	v_and_b32_e32 v99, 0xfffff, v151
	v_add_nc_u32_e32 v151, v99, v162
                                        ; implicit-def: $vgpr99
	s_delay_alu instid0(VALU_DEP_3)
	v_cmpx_ne_u32_e64 v160, v161
	s_xor_b32 s8, exec_lo, s8
; %bb.239:                              ;   in Loop: Header=BB2_130 Depth=3
	s_delay_alu instid0(VALU_DEP_2) | instskip(SKIP_2) | instid1(VALU_DEP_2)
	v_cmp_lt_u32_e32 vcc_lo, 0xffffff, v151
	v_sub_nc_u32_e32 v99, v160, v161
	v_cndmask_b32_e64 v160, 0, 1, vcc_lo
	v_add_co_ci_u32_e32 v99, vcc_lo, 0, v99, vcc_lo
	s_delay_alu instid0(VALU_DEP_2)
	v_lshrrev_b32_e32 v151, v160, v151
; %bb.240:                              ;   in Loop: Header=BB2_130 Depth=3
	s_and_not1_saveexec_b32 s8, s8
; %bb.241:                              ;   in Loop: Header=BB2_130 Depth=3
	s_delay_alu instid0(VALU_DEP_1)
	v_bfe_u32 v99, v151, 23, 1
; %bb.242:                              ;   in Loop: Header=BB2_130 Depth=3
	s_or_b32 exec_lo, exec_lo, s8
	v_lshrrev_b32_e32 v151, 20, v151
	s_delay_alu instid0(VALU_DEP_2) | instskip(SKIP_2) | instid1(VALU_DEP_2)
	v_cmp_gt_i32_e32 vcc_lo, 16, v99
	v_min_i32_e32 v160, 15, v99
	v_lshrrev_b32_e32 v150, 24, v150
	v_dual_cndmask_b32 v151, 7, v151 :: v_dual_lshlrev_b32 v160, 3, v160
	s_delay_alu instid0(VALU_DEP_2) | instskip(NEXT) | instid1(VALU_DEP_2)
	v_and_b32_e32 v150, 0x80, v150
	v_or_b32_e32 v99, v99, v151
	v_and_b32_e32 v161, 7, v151
	s_delay_alu instid0(VALU_DEP_2) | instskip(SKIP_1) | instid1(VALU_DEP_1)
	v_cmp_ne_u32_e32 vcc_lo, 0, v99
	v_and_b32_e32 v160, 0xf8, v160
	v_or3_b32 v150, v150, v160, v161
	s_delay_alu instid0(VALU_DEP_1) | instskip(NEXT) | instid1(VALU_DEP_1)
	v_lshlrev_b32_e32 v150, 8, v150
	v_cndmask_b32_e32 v99, 0, v150, vcc_lo
.LBB2_243:                              ;   in Loop: Header=BB2_130 Depth=3
	s_or_b32 exec_lo, exec_lo, s20
.LBB2_244:                              ;   in Loop: Header=BB2_130 Depth=3
	s_delay_alu instid0(SALU_CYCLE_1) | instskip(SKIP_3) | instid1(VALU_DEP_1)
	s_or_b32 exec_lo, exec_lo, s9
	v_lshrrev_b32_e32 v151, 16, v22
	s_mov_b32 s8, 0
	s_mov_b32 s20, exec_lo
                                        ; implicit-def: $sgpr9
	v_and_b32_e32 v160, 0xff, v151
	s_delay_alu instid0(VALU_DEP_1)
	v_cmpx_lt_i16_e64 0x7f, v160
	s_xor_b32 s20, exec_lo, s20
	s_cbranch_execnz .LBB2_322
; %bb.245:                              ;   in Loop: Header=BB2_130 Depth=3
	s_or_saveexec_b32 s20, s20
	v_mov_b32_e32 v150, s9
	s_xor_b32 exec_lo, exec_lo, s20
	s_cbranch_execnz .LBB2_325
.LBB2_246:                              ;   in Loop: Header=BB2_130 Depth=3
	s_or_b32 exec_lo, exec_lo, s20
	s_and_saveexec_b32 s9, s8
	s_cbranch_execz .LBB2_248
.LBB2_247:                              ;   in Loop: Header=BB2_130 Depth=3
	v_bfe_u32 v150, v22, 16, 3
	v_lshlrev_b32_e32 v162, 8, v22
	s_delay_alu instid0(VALU_DEP_2) | instskip(NEXT) | instid1(VALU_DEP_1)
	v_clz_i32_u32_e32 v160, v150
	v_min_u32_e32 v160, 32, v160
	s_delay_alu instid0(VALU_DEP_1) | instskip(SKIP_1) | instid1(VALU_DEP_2)
	v_subrev_nc_u32_e32 v161, 28, v160
	v_sub_nc_u32_e32 v160, 29, v160
	v_lshlrev_b32_e32 v151, v161, v151
	v_bfe_u32 v161, v22, 19, 4
	s_delay_alu instid0(VALU_DEP_1) | instskip(NEXT) | instid1(VALU_DEP_3)
	v_cmp_eq_u32_e32 vcc_lo, 0, v161
	v_dual_cndmask_b32 v160, v161, v160 :: v_dual_and_b32 v151, 7, v151
	s_delay_alu instid0(VALU_DEP_1) | instskip(NEXT) | instid1(VALU_DEP_2)
	v_dual_cndmask_b32 v150, v150, v151 :: v_dual_and_b32 v151, 0x80000000, v162
	v_lshl_add_u32 v160, v160, 23, 0x3b800000
	s_delay_alu instid0(VALU_DEP_2) | instskip(NEXT) | instid1(VALU_DEP_1)
	v_lshlrev_b32_e32 v150, 20, v150
	v_or3_b32 v150, v151, v160, v150
.LBB2_248:                              ;   in Loop: Header=BB2_130 Depth=3
	s_or_b32 exec_lo, exec_lo, s9
	v_lshrrev_b32_e32 v151, 16, v85
	s_mov_b32 s8, 0
	s_mov_b32 s20, exec_lo
                                        ; implicit-def: $sgpr9
	s_delay_alu instid0(VALU_DEP_1) | instskip(NEXT) | instid1(VALU_DEP_1)
	v_and_b32_e32 v161, 0xff, v151
	v_cmpx_lt_i16_e64 0x7f, v161
	s_xor_b32 s20, exec_lo, s20
	s_cbranch_execnz .LBB2_326
; %bb.249:                              ;   in Loop: Header=BB2_130 Depth=3
	s_or_saveexec_b32 s20, s20
	v_mov_b32_e32 v160, s9
	s_xor_b32 exec_lo, exec_lo, s20
	s_cbranch_execnz .LBB2_329
.LBB2_250:                              ;   in Loop: Header=BB2_130 Depth=3
	s_or_b32 exec_lo, exec_lo, s20
	s_and_saveexec_b32 s9, s8
	s_cbranch_execz .LBB2_252
.LBB2_251:                              ;   in Loop: Header=BB2_130 Depth=3
	v_bfe_u32 v160, v85, 16, 3
	v_lshlrev_b32_e32 v163, 8, v85
	s_delay_alu instid0(VALU_DEP_2) | instskip(NEXT) | instid1(VALU_DEP_1)
	v_clz_i32_u32_e32 v161, v160
	v_min_u32_e32 v161, 32, v161
	s_delay_alu instid0(VALU_DEP_1) | instskip(SKIP_1) | instid1(VALU_DEP_2)
	v_subrev_nc_u32_e32 v162, 28, v161
	v_sub_nc_u32_e32 v161, 29, v161
	v_lshlrev_b32_e32 v151, v162, v151
	v_bfe_u32 v162, v85, 19, 4
	s_delay_alu instid0(VALU_DEP_2) | instskip(NEXT) | instid1(VALU_DEP_2)
	v_and_b32_e32 v151, 7, v151
	v_cmp_eq_u32_e32 vcc_lo, 0, v162
	v_cndmask_b32_e32 v161, v162, v161, vcc_lo
	s_delay_alu instid0(VALU_DEP_3) | instskip(SKIP_1) | instid1(VALU_DEP_3)
	v_cndmask_b32_e32 v151, v160, v151, vcc_lo
	v_and_b32_e32 v160, 0x80000000, v163
	v_lshl_add_u32 v161, v161, 23, 0x3b800000
	s_delay_alu instid0(VALU_DEP_3) | instskip(NEXT) | instid1(VALU_DEP_1)
	v_lshlrev_b32_e32 v151, 20, v151
	v_or3_b32 v160, v160, v161, v151
.LBB2_252:                              ;   in Loop: Header=BB2_130 Depth=3
	s_or_b32 exec_lo, exec_lo, s9
	s_delay_alu instid0(VALU_DEP_1) | instskip(NEXT) | instid1(VALU_DEP_1)
	v_add_f32_e32 v151, v150, v160
	v_and_b32_e32 v150, 0x7f800000, v151
	s_delay_alu instid0(VALU_DEP_1)
	v_cmp_ne_u32_e32 vcc_lo, 0x7f800000, v150
	v_mov_b32_e32 v150, 0x80
	s_and_saveexec_b32 s9, vcc_lo
	s_cbranch_execz .LBB2_260
; %bb.253:                              ;   in Loop: Header=BB2_130 Depth=3
	v_mov_b32_e32 v150, 0
	s_mov_b32 s20, exec_lo
	v_cmpx_ne_u32_e32 0, v151
	s_cbranch_execz .LBB2_259
; %bb.254:                              ;   in Loop: Header=BB2_130 Depth=3
	v_bfe_u32 v150, v151, 23, 8
	s_delay_alu instid0(VALU_DEP_1) | instskip(SKIP_1) | instid1(VALU_DEP_2)
	v_sub_nc_u32_e32 v161, 0x78, v150
	v_cmp_gt_u32_e32 vcc_lo, 0x79, v150
	v_dual_cndmask_b32 v161, 0, v161 :: v_dual_and_b32 v160, 0x7fffff, v151
	s_delay_alu instid0(VALU_DEP_1) | instskip(SKIP_2) | instid1(VALU_DEP_4)
	v_or_b32_e32 v162, 0x800000, v160
	v_cmp_eq_u32_e32 vcc_lo, 0, v150
	v_add_nc_u32_e32 v150, 0xffffff89, v150
	v_cndmask_b32_e64 v161, v161, 0x77, vcc_lo
	s_delay_alu instid0(VALU_DEP_2) | instskip(SKIP_1) | instid1(VALU_DEP_3)
	v_cndmask_b32_e64 v150, v150, 0xffffff8a, vcc_lo
	v_cndmask_b32_e32 v160, v162, v160, vcc_lo
	v_lshl_add_u32 v162, 0x100000, v161, -1
	v_lshlrev_b32_e64 v165, v161, 0x80000
	s_delay_alu instid0(VALU_DEP_3) | instskip(SKIP_1) | instid1(VALU_DEP_4)
	v_lshrrev_b32_e32 v163, v161, v160
	v_add_nc_u32_e32 v161, v161, v150
	v_and_b32_e32 v160, v162, v160
	s_delay_alu instid0(VALU_DEP_3) | instskip(NEXT) | instid1(VALU_DEP_2)
	v_bfe_u32 v164, v163, 20, 1
	v_cmp_eq_u32_e64 s8, v160, v165
	s_delay_alu instid0(VALU_DEP_2) | instskip(NEXT) | instid1(VALU_DEP_1)
	v_add_nc_u32_e32 v162, -1, v164
	v_cndmask_b32_e64 v160, 0, v162, s8
	v_lshrrev_b32_e32 v162, 23, v163
	s_mov_b32 s8, exec_lo
	s_delay_alu instid0(VALU_DEP_2) | instskip(NEXT) | instid1(VALU_DEP_2)
	v_add_nc_u32_e32 v160, v160, v163
	v_xor_b32_e32 v162, 1, v162
	s_delay_alu instid0(VALU_DEP_2) | instskip(NEXT) | instid1(VALU_DEP_1)
	v_and_b32_e32 v150, 0xfffff, v160
	v_add_nc_u32_e32 v160, v150, v163
                                        ; implicit-def: $vgpr150
	s_delay_alu instid0(VALU_DEP_3)
	v_cmpx_ne_u32_e64 v161, v162
	s_xor_b32 s8, exec_lo, s8
; %bb.255:                              ;   in Loop: Header=BB2_130 Depth=3
	s_delay_alu instid0(VALU_DEP_2) | instskip(SKIP_2) | instid1(VALU_DEP_2)
	v_cmp_lt_u32_e32 vcc_lo, 0xffffff, v160
	v_sub_nc_u32_e32 v150, v161, v162
	v_cndmask_b32_e64 v161, 0, 1, vcc_lo
	v_add_co_ci_u32_e32 v150, vcc_lo, 0, v150, vcc_lo
	s_delay_alu instid0(VALU_DEP_2)
	v_lshrrev_b32_e32 v160, v161, v160
; %bb.256:                              ;   in Loop: Header=BB2_130 Depth=3
	s_and_not1_saveexec_b32 s8, s8
; %bb.257:                              ;   in Loop: Header=BB2_130 Depth=3
	s_delay_alu instid0(VALU_DEP_1)
	v_bfe_u32 v150, v160, 23, 1
; %bb.258:                              ;   in Loop: Header=BB2_130 Depth=3
	s_or_b32 exec_lo, exec_lo, s8
	v_lshrrev_b32_e32 v160, 20, v160
	s_delay_alu instid0(VALU_DEP_2) | instskip(SKIP_2) | instid1(VALU_DEP_2)
	v_cmp_gt_i32_e32 vcc_lo, 16, v150
	v_min_i32_e32 v161, 15, v150
	v_lshrrev_b32_e32 v151, 24, v151
	v_dual_cndmask_b32 v160, 7, v160 :: v_dual_lshlrev_b32 v161, 3, v161
	s_delay_alu instid0(VALU_DEP_2) | instskip(NEXT) | instid1(VALU_DEP_2)
	v_and_b32_e32 v151, 0x80, v151
	v_or_b32_e32 v150, v150, v160
	v_and_b32_e32 v162, 7, v160
	s_delay_alu instid0(VALU_DEP_2) | instskip(SKIP_1) | instid1(VALU_DEP_1)
	v_cmp_ne_u32_e32 vcc_lo, 0, v150
	v_and_b32_e32 v161, 0xf8, v161
	v_or3_b32 v151, v161, v151, v162
	s_delay_alu instid0(VALU_DEP_1)
	v_cndmask_b32_e32 v150, 0, v151, vcc_lo
.LBB2_259:                              ;   in Loop: Header=BB2_130 Depth=3
	s_or_b32 exec_lo, exec_lo, s20
.LBB2_260:                              ;   in Loop: Header=BB2_130 Depth=3
	s_delay_alu instid0(SALU_CYCLE_1) | instskip(SKIP_3) | instid1(VALU_DEP_1)
	s_or_b32 exec_lo, exec_lo, s9
	v_lshrrev_b32_e32 v160, 24, v22
	s_mov_b32 s8, 0
	s_mov_b32 s20, exec_lo
                                        ; implicit-def: $sgpr9
	v_cmpx_lt_i16_e64 0x7f, v160
	s_xor_b32 s20, exec_lo, s20
	s_cbranch_execnz .LBB2_330
; %bb.261:                              ;   in Loop: Header=BB2_130 Depth=3
	s_or_saveexec_b32 s20, s20
	v_mov_b32_e32 v151, s9
	s_xor_b32 exec_lo, exec_lo, s20
	s_cbranch_execnz .LBB2_333
.LBB2_262:                              ;   in Loop: Header=BB2_130 Depth=3
	s_or_b32 exec_lo, exec_lo, s20
	s_and_saveexec_b32 s9, s8
	s_cbranch_execz .LBB2_264
.LBB2_263:                              ;   in Loop: Header=BB2_130 Depth=3
	v_bfe_u32 v151, v22, 24, 3
	s_delay_alu instid0(VALU_DEP_1) | instskip(NEXT) | instid1(VALU_DEP_1)
	v_clz_i32_u32_e32 v161, v151
	v_min_u32_e32 v161, 32, v161
	s_delay_alu instid0(VALU_DEP_1) | instskip(SKIP_1) | instid1(VALU_DEP_2)
	v_subrev_nc_u32_e32 v162, 28, v161
	v_sub_nc_u32_e32 v161, 29, v161
	v_lshlrev_b32_e32 v160, v162, v160
	v_bfe_u32 v162, v22, 27, 4
	v_and_b32_e32 v22, 0x80000000, v22
	s_delay_alu instid0(VALU_DEP_2) | instskip(NEXT) | instid1(VALU_DEP_4)
	v_cmp_eq_u32_e32 vcc_lo, 0, v162
	v_dual_cndmask_b32 v161, v162, v161 :: v_dual_and_b32 v160, 7, v160
	s_delay_alu instid0(VALU_DEP_1) | instskip(NEXT) | instid1(VALU_DEP_2)
	v_cndmask_b32_e32 v151, v151, v160, vcc_lo
	v_lshl_add_u32 v160, v161, 23, 0x3b800000
	s_delay_alu instid0(VALU_DEP_2) | instskip(NEXT) | instid1(VALU_DEP_1)
	v_lshlrev_b32_e32 v151, 20, v151
	v_or3_b32 v151, v22, v160, v151
.LBB2_264:                              ;   in Loop: Header=BB2_130 Depth=3
	s_or_b32 exec_lo, exec_lo, s9
	v_lshrrev_b32_e32 v22, 24, v85
	s_mov_b32 s8, 0
	s_mov_b32 s20, exec_lo
                                        ; implicit-def: $sgpr9
	s_delay_alu instid0(VALU_DEP_1)
	v_cmpx_lt_i16_e32 0x7f, v22
	s_xor_b32 s20, exec_lo, s20
	s_cbranch_execnz .LBB2_334
; %bb.265:                              ;   in Loop: Header=BB2_130 Depth=3
	s_or_saveexec_b32 s20, s20
	v_mov_b32_e32 v160, s9
	s_xor_b32 exec_lo, exec_lo, s20
	s_cbranch_execnz .LBB2_337
.LBB2_266:                              ;   in Loop: Header=BB2_130 Depth=3
	s_or_b32 exec_lo, exec_lo, s20
	s_and_saveexec_b32 s9, s8
	s_cbranch_execz .LBB2_268
.LBB2_267:                              ;   in Loop: Header=BB2_130 Depth=3
	v_bfe_u32 v160, v85, 24, 3
	s_delay_alu instid0(VALU_DEP_1) | instskip(NEXT) | instid1(VALU_DEP_1)
	v_clz_i32_u32_e32 v161, v160
	v_min_u32_e32 v161, 32, v161
	s_delay_alu instid0(VALU_DEP_1) | instskip(SKIP_1) | instid1(VALU_DEP_2)
	v_subrev_nc_u32_e32 v162, 28, v161
	v_sub_nc_u32_e32 v161, 29, v161
	v_lshlrev_b32_e32 v22, v162, v22
	v_bfe_u32 v162, v85, 27, 4
	v_and_b32_e32 v85, 0x80000000, v85
	s_delay_alu instid0(VALU_DEP_2) | instskip(NEXT) | instid1(VALU_DEP_4)
	v_cmp_eq_u32_e32 vcc_lo, 0, v162
	v_dual_cndmask_b32 v161, v162, v161 :: v_dual_and_b32 v22, 7, v22
	s_delay_alu instid0(VALU_DEP_1) | instskip(NEXT) | instid1(VALU_DEP_2)
	v_cndmask_b32_e32 v22, v160, v22, vcc_lo
	v_lshl_add_u32 v160, v161, 23, 0x3b800000
	s_delay_alu instid0(VALU_DEP_2) | instskip(NEXT) | instid1(VALU_DEP_1)
	v_lshlrev_b32_e32 v22, 20, v22
	v_or3_b32 v160, v85, v160, v22
.LBB2_268:                              ;   in Loop: Header=BB2_130 Depth=3
	s_or_b32 exec_lo, exec_lo, s9
	s_delay_alu instid0(VALU_DEP_1) | instskip(NEXT) | instid1(VALU_DEP_1)
	v_add_f32_e32 v22, v151, v160
	v_and_b32_e32 v85, 0x7f800000, v22
	s_delay_alu instid0(VALU_DEP_1)
	v_cmp_ne_u32_e32 vcc_lo, 0x7f800000, v85
	v_mov_b32_e32 v85, 0x8000
	s_and_saveexec_b32 s9, vcc_lo
	s_cbranch_execz .LBB2_129
; %bb.269:                              ;   in Loop: Header=BB2_130 Depth=3
	v_mov_b32_e32 v85, 0
	s_mov_b32 s20, exec_lo
	v_cmpx_ne_u32_e32 0, v22
	s_cbranch_execz .LBB2_128
; %bb.270:                              ;   in Loop: Header=BB2_130 Depth=3
	v_bfe_u32 v85, v22, 23, 8
	s_delay_alu instid0(VALU_DEP_1) | instskip(SKIP_1) | instid1(VALU_DEP_2)
	v_sub_nc_u32_e32 v160, 0x78, v85
	v_cmp_gt_u32_e32 vcc_lo, 0x79, v85
	v_dual_cndmask_b32 v160, 0, v160 :: v_dual_and_b32 v151, 0x7fffff, v22
	s_delay_alu instid0(VALU_DEP_1) | instskip(SKIP_2) | instid1(VALU_DEP_4)
	v_or_b32_e32 v161, 0x800000, v151
	v_cmp_eq_u32_e32 vcc_lo, 0, v85
	v_add_nc_u32_e32 v85, 0xffffff89, v85
	v_cndmask_b32_e64 v160, v160, 0x77, vcc_lo
	s_delay_alu instid0(VALU_DEP_2) | instskip(SKIP_1) | instid1(VALU_DEP_3)
	v_cndmask_b32_e64 v85, v85, 0xffffff8a, vcc_lo
	v_cndmask_b32_e32 v151, v161, v151, vcc_lo
	v_lshl_add_u32 v161, 0x100000, v160, -1
	v_lshlrev_b32_e64 v164, v160, 0x80000
	s_delay_alu instid0(VALU_DEP_3) | instskip(SKIP_1) | instid1(VALU_DEP_4)
	v_lshrrev_b32_e32 v162, v160, v151
	v_add_nc_u32_e32 v160, v160, v85
	v_and_b32_e32 v151, v161, v151
	s_delay_alu instid0(VALU_DEP_3) | instskip(NEXT) | instid1(VALU_DEP_2)
	v_bfe_u32 v163, v162, 20, 1
	v_cmp_eq_u32_e64 s8, v151, v164
	s_delay_alu instid0(VALU_DEP_2) | instskip(NEXT) | instid1(VALU_DEP_1)
	v_add_nc_u32_e32 v161, -1, v163
	v_cndmask_b32_e64 v151, 0, v161, s8
	v_lshrrev_b32_e32 v161, 23, v162
	s_mov_b32 s8, exec_lo
	s_delay_alu instid0(VALU_DEP_2) | instskip(NEXT) | instid1(VALU_DEP_2)
	v_add_nc_u32_e32 v151, v151, v162
	v_xor_b32_e32 v161, 1, v161
	s_delay_alu instid0(VALU_DEP_2) | instskip(NEXT) | instid1(VALU_DEP_1)
	v_and_b32_e32 v85, 0xfffff, v151
	v_add_nc_u32_e32 v151, v85, v162
                                        ; implicit-def: $vgpr85
	s_delay_alu instid0(VALU_DEP_3)
	v_cmpx_ne_u32_e64 v160, v161
	s_xor_b32 s8, exec_lo, s8
; %bb.271:                              ;   in Loop: Header=BB2_130 Depth=3
	s_delay_alu instid0(VALU_DEP_2) | instskip(SKIP_2) | instid1(VALU_DEP_2)
	v_cmp_lt_u32_e32 vcc_lo, 0xffffff, v151
	v_sub_nc_u32_e32 v85, v160, v161
	v_cndmask_b32_e64 v160, 0, 1, vcc_lo
	v_add_co_ci_u32_e32 v85, vcc_lo, 0, v85, vcc_lo
	s_delay_alu instid0(VALU_DEP_2)
	v_lshrrev_b32_e32 v151, v160, v151
; %bb.272:                              ;   in Loop: Header=BB2_130 Depth=3
	s_and_not1_saveexec_b32 s8, s8
	s_cbranch_execz .LBB2_127
; %bb.273:                              ;   in Loop: Header=BB2_130 Depth=3
	s_delay_alu instid0(VALU_DEP_1)
	v_bfe_u32 v85, v151, 23, 1
	s_branch .LBB2_127
.LBB2_274:                              ;   in Loop: Header=BB2_130 Depth=3
	s_mov_b32 s8, -1
	s_mov_b32 s21, exec_lo
                                        ; implicit-def: $sgpr9
	v_cmpx_eq_u16_e32 0x80, v23
; %bb.275:                              ;   in Loop: Header=BB2_130 Depth=3
	s_mov_b32 s9, 0x7f800001
	s_xor_b32 s8, exec_lo, -1
; %bb.276:                              ;   in Loop: Header=BB2_130 Depth=3
	s_or_b32 exec_lo, exec_lo, s21
	s_delay_alu instid0(SALU_CYCLE_1)
	s_and_b32 s8, s8, exec_lo
                                        ; implicit-def: $vgpr23
	s_or_saveexec_b32 s20, s20
	v_mov_b32_e32 v21, s9
	s_xor_b32 exec_lo, exec_lo, s20
	s_cbranch_execz .LBB2_150
.LBB2_277:                              ;   in Loop: Header=BB2_130 Depth=3
	v_cmp_ne_u16_e32 vcc_lo, 0, v23
	v_mov_b32_e32 v21, 0
	s_and_not1_b32 s8, s8, exec_lo
	s_and_b32 s9, vcc_lo, exec_lo
	s_delay_alu instid0(SALU_CYCLE_1)
	s_or_b32 s8, s8, s9
	s_or_b32 exec_lo, exec_lo, s20
	s_and_saveexec_b32 s9, s8
	s_cbranch_execnz .LBB2_151
	s_branch .LBB2_152
.LBB2_278:                              ;   in Loop: Header=BB2_130 Depth=3
	s_mov_b32 s8, -1
	s_mov_b32 s21, exec_lo
                                        ; implicit-def: $sgpr9
	v_cmpx_eq_u16_e32 0x80, v23
; %bb.279:                              ;   in Loop: Header=BB2_130 Depth=3
	s_mov_b32 s9, 0x7f800001
	s_xor_b32 s8, exec_lo, -1
; %bb.280:                              ;   in Loop: Header=BB2_130 Depth=3
	s_or_b32 exec_lo, exec_lo, s21
	s_delay_alu instid0(SALU_CYCLE_1)
	s_and_b32 s8, s8, exec_lo
                                        ; implicit-def: $vgpr23
	s_or_saveexec_b32 s20, s20
	v_mov_b32_e32 v18, s9
	s_xor_b32 exec_lo, exec_lo, s20
	s_cbranch_execz .LBB2_154
.LBB2_281:                              ;   in Loop: Header=BB2_130 Depth=3
	v_cmp_ne_u16_e32 vcc_lo, 0, v23
	v_mov_b32_e32 v18, 0
	s_and_not1_b32 s8, s8, exec_lo
	s_and_b32 s9, vcc_lo, exec_lo
	s_delay_alu instid0(SALU_CYCLE_1)
	s_or_b32 s8, s8, s9
	s_or_b32 exec_lo, exec_lo, s20
	s_and_saveexec_b32 s9, s8
	s_cbranch_execnz .LBB2_155
	s_branch .LBB2_156
.LBB2_282:                              ;   in Loop: Header=BB2_130 Depth=3
	s_mov_b32 s8, -1
	s_mov_b32 s21, exec_lo
                                        ; implicit-def: $sgpr9
	v_cmpx_eq_u16_e32 0x80, v23
; %bb.283:                              ;   in Loop: Header=BB2_130 Depth=3
	s_mov_b32 s9, 0x7f800001
	s_xor_b32 s8, exec_lo, -1
; %bb.284:                              ;   in Loop: Header=BB2_130 Depth=3
	s_or_b32 exec_lo, exec_lo, s21
	s_delay_alu instid0(SALU_CYCLE_1)
	s_and_b32 s8, s8, exec_lo
	s_or_saveexec_b32 s20, s20
	v_mov_b32_e32 v21, s9
	s_xor_b32 exec_lo, exec_lo, s20
	s_cbranch_execz .LBB2_166
.LBB2_285:                              ;   in Loop: Header=BB2_130 Depth=3
	v_cmp_ne_u16_e32 vcc_lo, 0, v23
	v_mov_b32_e32 v21, 0
	s_and_not1_b32 s8, s8, exec_lo
	s_and_b32 s9, vcc_lo, exec_lo
	s_delay_alu instid0(SALU_CYCLE_1)
	s_or_b32 s8, s8, s9
	s_or_b32 exec_lo, exec_lo, s20
	s_and_saveexec_b32 s9, s8
	s_cbranch_execnz .LBB2_167
	s_branch .LBB2_168
.LBB2_286:                              ;   in Loop: Header=BB2_130 Depth=3
	s_mov_b32 s8, -1
	s_mov_b32 s21, exec_lo
                                        ; implicit-def: $sgpr9
	v_cmpx_eq_u16_e32 0x80, v23
; %bb.287:                              ;   in Loop: Header=BB2_130 Depth=3
	s_mov_b32 s9, 0x7f800001
	s_xor_b32 s8, exec_lo, -1
; %bb.288:                              ;   in Loop: Header=BB2_130 Depth=3
	s_or_b32 exec_lo, exec_lo, s21
	s_delay_alu instid0(SALU_CYCLE_1)
	s_and_b32 s8, s8, exec_lo
	s_or_saveexec_b32 s20, s20
	v_mov_b32_e32 v99, s9
	s_xor_b32 exec_lo, exec_lo, s20
	s_cbranch_execz .LBB2_170
.LBB2_289:                              ;   in Loop: Header=BB2_130 Depth=3
	v_cmp_ne_u16_e32 vcc_lo, 0, v23
	v_mov_b32_e32 v99, 0
	s_and_not1_b32 s8, s8, exec_lo
	s_and_b32 s9, vcc_lo, exec_lo
	s_delay_alu instid0(SALU_CYCLE_1)
	s_or_b32 s8, s8, s9
	s_or_b32 exec_lo, exec_lo, s20
	s_and_saveexec_b32 s9, s8
	s_cbranch_execnz .LBB2_171
	s_branch .LBB2_172
.LBB2_290:                              ;   in Loop: Header=BB2_130 Depth=3
	s_mov_b32 s8, -1
	s_mov_b32 s21, exec_lo
                                        ; implicit-def: $sgpr9
	v_cmpx_eq_u16_e64 0x80, v160
; %bb.291:                              ;   in Loop: Header=BB2_130 Depth=3
	s_mov_b32 s9, 0x7f800001
	s_xor_b32 s8, exec_lo, -1
; %bb.292:                              ;   in Loop: Header=BB2_130 Depth=3
	s_or_b32 exec_lo, exec_lo, s21
	s_delay_alu instid0(SALU_CYCLE_1)
	s_and_b32 s8, s8, exec_lo
                                        ; implicit-def: $vgpr160
	s_or_saveexec_b32 s20, s20
	v_mov_b32_e32 v23, s9
	s_xor_b32 exec_lo, exec_lo, s20
	s_cbranch_execz .LBB2_182
.LBB2_293:                              ;   in Loop: Header=BB2_130 Depth=3
	v_cmp_ne_u16_e64 vcc_lo, 0, v160
	v_mov_b32_e32 v23, 0
	s_and_not1_b32 s8, s8, exec_lo
	s_delay_alu instid0(VALU_DEP_2) | instskip(NEXT) | instid1(SALU_CYCLE_1)
	s_and_b32 s9, vcc_lo, exec_lo
	s_or_b32 s8, s8, s9
	s_or_b32 exec_lo, exec_lo, s20
	s_and_saveexec_b32 s9, s8
	s_cbranch_execnz .LBB2_183
	s_branch .LBB2_184
.LBB2_294:                              ;   in Loop: Header=BB2_130 Depth=3
	s_mov_b32 s8, -1
	s_mov_b32 s21, exec_lo
                                        ; implicit-def: $sgpr9
	v_cmpx_eq_u16_e64 0x80, v161
; %bb.295:                              ;   in Loop: Header=BB2_130 Depth=3
	s_mov_b32 s9, 0x7f800001
	s_xor_b32 s8, exec_lo, -1
; %bb.296:                              ;   in Loop: Header=BB2_130 Depth=3
	s_or_b32 exec_lo, exec_lo, s21
	s_delay_alu instid0(SALU_CYCLE_1)
	s_and_b32 s8, s8, exec_lo
                                        ; implicit-def: $vgpr161
	s_or_saveexec_b32 s20, s20
	v_mov_b32_e32 v160, s9
	s_xor_b32 exec_lo, exec_lo, s20
	s_cbranch_execz .LBB2_186
.LBB2_297:                              ;   in Loop: Header=BB2_130 Depth=3
	v_cmp_ne_u16_e64 vcc_lo, 0, v161
	v_mov_b32_e32 v160, 0
	s_and_not1_b32 s8, s8, exec_lo
	s_delay_alu instid0(VALU_DEP_2) | instskip(NEXT) | instid1(SALU_CYCLE_1)
	s_and_b32 s9, vcc_lo, exec_lo
	s_or_b32 s8, s8, s9
	s_or_b32 exec_lo, exec_lo, s20
	s_and_saveexec_b32 s9, s8
	s_cbranch_execnz .LBB2_187
	s_branch .LBB2_188
.LBB2_298:                              ;   in Loop: Header=BB2_130 Depth=3
	s_mov_b32 s8, -1
	s_mov_b32 s21, exec_lo
                                        ; implicit-def: $sgpr9
	v_cmpx_eq_u16_e64 0x80, v160
; %bb.299:                              ;   in Loop: Header=BB2_130 Depth=3
	s_mov_b32 s9, 0x7f800001
	s_xor_b32 s8, exec_lo, -1
; %bb.300:                              ;   in Loop: Header=BB2_130 Depth=3
	s_or_b32 exec_lo, exec_lo, s21
	s_delay_alu instid0(SALU_CYCLE_1)
	s_and_b32 s8, s8, exec_lo
	s_or_saveexec_b32 s20, s20
	v_mov_b32_e32 v99, s9
	s_xor_b32 exec_lo, exec_lo, s20
	s_cbranch_execz .LBB2_198
.LBB2_301:                              ;   in Loop: Header=BB2_130 Depth=3
	v_cmp_ne_u16_e64 vcc_lo, 0, v160
	v_mov_b32_e32 v99, 0
	s_and_not1_b32 s8, s8, exec_lo
	s_delay_alu instid0(VALU_DEP_2) | instskip(NEXT) | instid1(SALU_CYCLE_1)
	s_and_b32 s9, vcc_lo, exec_lo
	s_or_b32 s8, s8, s9
	s_or_b32 exec_lo, exec_lo, s20
	s_and_saveexec_b32 s9, s8
	s_cbranch_execnz .LBB2_199
	s_branch .LBB2_200
.LBB2_302:                              ;   in Loop: Header=BB2_130 Depth=3
	s_mov_b32 s8, -1
	s_mov_b32 s21, exec_lo
                                        ; implicit-def: $sgpr9
	v_cmpx_eq_u16_e32 0x80, v20
; %bb.303:                              ;   in Loop: Header=BB2_130 Depth=3
	s_mov_b32 s9, 0x7f800001
	s_xor_b32 s8, exec_lo, -1
; %bb.304:                              ;   in Loop: Header=BB2_130 Depth=3
	s_or_b32 exec_lo, exec_lo, s21
	s_delay_alu instid0(SALU_CYCLE_1)
	s_and_b32 s8, s8, exec_lo
	s_or_saveexec_b32 s20, s20
	v_mov_b32_e32 v160, s9
	s_xor_b32 exec_lo, exec_lo, s20
	s_cbranch_execz .LBB2_202
.LBB2_305:                              ;   in Loop: Header=BB2_130 Depth=3
	v_cmp_ne_u16_e32 vcc_lo, 0, v20
	v_mov_b32_e32 v160, 0
	s_and_not1_b32 s8, s8, exec_lo
	s_and_b32 s9, vcc_lo, exec_lo
	s_delay_alu instid0(SALU_CYCLE_1)
	s_or_b32 s8, s8, s9
	s_or_b32 exec_lo, exec_lo, s20
	s_and_saveexec_b32 s9, s8
	s_cbranch_execnz .LBB2_203
	s_branch .LBB2_204
.LBB2_306:                              ;   in Loop: Header=BB2_130 Depth=3
	s_mov_b32 s8, -1
	s_mov_b32 s21, exec_lo
                                        ; implicit-def: $sgpr9
	v_cmpx_eq_u16_e32 0x80, v99
; %bb.307:                              ;   in Loop: Header=BB2_130 Depth=3
	s_mov_b32 s9, 0x7f800001
	s_xor_b32 s8, exec_lo, -1
; %bb.308:                              ;   in Loop: Header=BB2_130 Depth=3
	s_or_b32 exec_lo, exec_lo, s21
	s_delay_alu instid0(SALU_CYCLE_1)
	s_and_b32 s8, s8, exec_lo
                                        ; implicit-def: $vgpr99
	s_or_saveexec_b32 s20, s20
	v_mov_b32_e32 v98, s9
	s_xor_b32 exec_lo, exec_lo, s20
	s_cbranch_execz .LBB2_214
.LBB2_309:                              ;   in Loop: Header=BB2_130 Depth=3
	v_cmp_ne_u16_e32 vcc_lo, 0, v99
	v_mov_b32_e32 v98, 0
	s_and_not1_b32 s8, s8, exec_lo
	s_and_b32 s9, vcc_lo, exec_lo
	s_delay_alu instid0(SALU_CYCLE_1)
	s_or_b32 s8, s8, s9
	s_or_b32 exec_lo, exec_lo, s20
	s_and_saveexec_b32 s9, s8
	s_cbranch_execnz .LBB2_215
	s_branch .LBB2_216
.LBB2_310:                              ;   in Loop: Header=BB2_130 Depth=3
	s_mov_b32 s8, -1
	s_mov_b32 s21, exec_lo
                                        ; implicit-def: $sgpr9
	v_cmpx_eq_u16_e64 0x80, v151
; %bb.311:                              ;   in Loop: Header=BB2_130 Depth=3
	s_mov_b32 s9, 0x7f800001
	s_xor_b32 s8, exec_lo, -1
; %bb.312:                              ;   in Loop: Header=BB2_130 Depth=3
	s_or_b32 exec_lo, exec_lo, s21
	s_delay_alu instid0(SALU_CYCLE_1)
	s_and_b32 s8, s8, exec_lo
                                        ; implicit-def: $vgpr151
	s_or_saveexec_b32 s20, s20
	v_mov_b32_e32 v150, s9
	s_xor_b32 exec_lo, exec_lo, s20
	s_cbranch_execz .LBB2_218
.LBB2_313:                              ;   in Loop: Header=BB2_130 Depth=3
	v_cmp_ne_u16_e64 vcc_lo, 0, v151
	v_mov_b32_e32 v150, 0
	s_and_not1_b32 s8, s8, exec_lo
	s_delay_alu instid0(VALU_DEP_2) | instskip(NEXT) | instid1(SALU_CYCLE_1)
	s_and_b32 s9, vcc_lo, exec_lo
	s_or_b32 s8, s8, s9
	s_or_b32 exec_lo, exec_lo, s20
	s_and_saveexec_b32 s9, s8
	s_cbranch_execnz .LBB2_219
	s_branch .LBB2_220
.LBB2_314:                              ;   in Loop: Header=BB2_130 Depth=3
	s_mov_b32 s8, -1
	s_mov_b32 s21, exec_lo
                                        ; implicit-def: $sgpr9
	v_cmpx_eq_u16_e64 0x80, v150
; %bb.315:                              ;   in Loop: Header=BB2_130 Depth=3
	s_mov_b32 s9, 0x7f800001
	s_xor_b32 s8, exec_lo, -1
; %bb.316:                              ;   in Loop: Header=BB2_130 Depth=3
	s_or_b32 exec_lo, exec_lo, s21
	s_delay_alu instid0(SALU_CYCLE_1)
	s_and_b32 s8, s8, exec_lo
	s_or_saveexec_b32 s20, s20
	v_mov_b32_e32 v99, s9
	s_xor_b32 exec_lo, exec_lo, s20
	s_cbranch_execz .LBB2_230
.LBB2_317:                              ;   in Loop: Header=BB2_130 Depth=3
	v_cmp_ne_u16_e64 vcc_lo, 0, v150
	v_mov_b32_e32 v99, 0
	s_and_not1_b32 s8, s8, exec_lo
	s_delay_alu instid0(VALU_DEP_2) | instskip(NEXT) | instid1(SALU_CYCLE_1)
	s_and_b32 s9, vcc_lo, exec_lo
	s_or_b32 s8, s8, s9
	s_or_b32 exec_lo, exec_lo, s20
	s_and_saveexec_b32 s9, s8
	s_cbranch_execnz .LBB2_231
	s_branch .LBB2_232
.LBB2_318:                              ;   in Loop: Header=BB2_130 Depth=3
	s_mov_b32 s8, -1
	s_mov_b32 s21, exec_lo
                                        ; implicit-def: $sgpr9
	v_cmpx_eq_u16_e64 0x80, v150
; %bb.319:                              ;   in Loop: Header=BB2_130 Depth=3
	s_mov_b32 s9, 0x7f800001
	s_xor_b32 s8, exec_lo, -1
; %bb.320:                              ;   in Loop: Header=BB2_130 Depth=3
	s_or_b32 exec_lo, exec_lo, s21
	s_delay_alu instid0(SALU_CYCLE_1)
	s_and_b32 s8, s8, exec_lo
	s_or_saveexec_b32 s20, s20
	v_mov_b32_e32 v151, s9
	s_xor_b32 exec_lo, exec_lo, s20
	s_cbranch_execz .LBB2_234
.LBB2_321:                              ;   in Loop: Header=BB2_130 Depth=3
	v_cmp_ne_u16_e64 vcc_lo, 0, v150
	v_mov_b32_e32 v151, 0
	s_and_not1_b32 s8, s8, exec_lo
	s_delay_alu instid0(VALU_DEP_2) | instskip(NEXT) | instid1(SALU_CYCLE_1)
	s_and_b32 s9, vcc_lo, exec_lo
	s_or_b32 s8, s8, s9
	s_or_b32 exec_lo, exec_lo, s20
	s_and_saveexec_b32 s9, s8
	s_cbranch_execnz .LBB2_235
	s_branch .LBB2_236
.LBB2_322:                              ;   in Loop: Header=BB2_130 Depth=3
	s_mov_b32 s8, -1
	s_mov_b32 s21, exec_lo
                                        ; implicit-def: $sgpr9
	v_cmpx_eq_u16_e64 0x80, v160
; %bb.323:                              ;   in Loop: Header=BB2_130 Depth=3
	s_mov_b32 s9, 0x7f800001
	s_xor_b32 s8, exec_lo, -1
; %bb.324:                              ;   in Loop: Header=BB2_130 Depth=3
	s_or_b32 exec_lo, exec_lo, s21
	s_delay_alu instid0(SALU_CYCLE_1)
	s_and_b32 s8, s8, exec_lo
                                        ; implicit-def: $vgpr160
	s_or_saveexec_b32 s20, s20
	v_mov_b32_e32 v150, s9
	s_xor_b32 exec_lo, exec_lo, s20
	s_cbranch_execz .LBB2_246
.LBB2_325:                              ;   in Loop: Header=BB2_130 Depth=3
	v_cmp_ne_u16_e64 vcc_lo, 0, v160
	v_mov_b32_e32 v150, 0
	s_and_not1_b32 s8, s8, exec_lo
	s_delay_alu instid0(VALU_DEP_2) | instskip(NEXT) | instid1(SALU_CYCLE_1)
	s_and_b32 s9, vcc_lo, exec_lo
	s_or_b32 s8, s8, s9
	s_or_b32 exec_lo, exec_lo, s20
	s_and_saveexec_b32 s9, s8
	s_cbranch_execnz .LBB2_247
	s_branch .LBB2_248
.LBB2_326:                              ;   in Loop: Header=BB2_130 Depth=3
	s_mov_b32 s8, -1
	s_mov_b32 s21, exec_lo
                                        ; implicit-def: $sgpr9
	v_cmpx_eq_u16_e64 0x80, v161
; %bb.327:                              ;   in Loop: Header=BB2_130 Depth=3
	s_mov_b32 s9, 0x7f800001
	s_xor_b32 s8, exec_lo, -1
; %bb.328:                              ;   in Loop: Header=BB2_130 Depth=3
	s_or_b32 exec_lo, exec_lo, s21
	s_delay_alu instid0(SALU_CYCLE_1)
	s_and_b32 s8, s8, exec_lo
                                        ; implicit-def: $vgpr161
	s_or_saveexec_b32 s20, s20
	v_mov_b32_e32 v160, s9
	s_xor_b32 exec_lo, exec_lo, s20
	s_cbranch_execz .LBB2_250
.LBB2_329:                              ;   in Loop: Header=BB2_130 Depth=3
	v_cmp_ne_u16_e64 vcc_lo, 0, v161
	v_mov_b32_e32 v160, 0
	s_and_not1_b32 s8, s8, exec_lo
	s_delay_alu instid0(VALU_DEP_2) | instskip(NEXT) | instid1(SALU_CYCLE_1)
	s_and_b32 s9, vcc_lo, exec_lo
	s_or_b32 s8, s8, s9
	s_or_b32 exec_lo, exec_lo, s20
	s_and_saveexec_b32 s9, s8
	s_cbranch_execnz .LBB2_251
	s_branch .LBB2_252
.LBB2_330:                              ;   in Loop: Header=BB2_130 Depth=3
	s_mov_b32 s8, -1
	s_mov_b32 s21, exec_lo
                                        ; implicit-def: $sgpr9
	v_cmpx_eq_u16_e64 0x80, v160
; %bb.331:                              ;   in Loop: Header=BB2_130 Depth=3
	s_mov_b32 s9, 0x7f800001
	s_xor_b32 s8, exec_lo, -1
; %bb.332:                              ;   in Loop: Header=BB2_130 Depth=3
	s_or_b32 exec_lo, exec_lo, s21
	s_delay_alu instid0(SALU_CYCLE_1)
	s_and_b32 s8, s8, exec_lo
	s_or_saveexec_b32 s20, s20
	v_mov_b32_e32 v151, s9
	s_xor_b32 exec_lo, exec_lo, s20
	s_cbranch_execz .LBB2_262
.LBB2_333:                              ;   in Loop: Header=BB2_130 Depth=3
	v_cmp_ne_u16_e64 vcc_lo, 0, v160
	v_mov_b32_e32 v151, 0
	s_and_not1_b32 s8, s8, exec_lo
	s_delay_alu instid0(VALU_DEP_2) | instskip(NEXT) | instid1(SALU_CYCLE_1)
	s_and_b32 s9, vcc_lo, exec_lo
	s_or_b32 s8, s8, s9
	s_or_b32 exec_lo, exec_lo, s20
	s_and_saveexec_b32 s9, s8
	s_cbranch_execnz .LBB2_263
	s_branch .LBB2_264
.LBB2_334:                              ;   in Loop: Header=BB2_130 Depth=3
	s_mov_b32 s8, -1
	s_mov_b32 s21, exec_lo
                                        ; implicit-def: $sgpr9
	v_cmpx_eq_u16_e32 0x80, v22
; %bb.335:                              ;   in Loop: Header=BB2_130 Depth=3
	s_mov_b32 s9, 0x7f800001
	s_xor_b32 s8, exec_lo, -1
; %bb.336:                              ;   in Loop: Header=BB2_130 Depth=3
	s_or_b32 exec_lo, exec_lo, s21
	s_delay_alu instid0(SALU_CYCLE_1)
	s_and_b32 s8, s8, exec_lo
	s_or_saveexec_b32 s20, s20
	v_mov_b32_e32 v160, s9
	s_xor_b32 exec_lo, exec_lo, s20
	s_cbranch_execz .LBB2_266
.LBB2_337:                              ;   in Loop: Header=BB2_130 Depth=3
	v_cmp_ne_u16_e32 vcc_lo, 0, v22
	v_mov_b32_e32 v160, 0
	s_and_not1_b32 s8, s8, exec_lo
	s_and_b32 s9, vcc_lo, exec_lo
	s_delay_alu instid0(SALU_CYCLE_1)
	s_or_b32 s8, s8, s9
	s_or_b32 exec_lo, exec_lo, s20
	s_and_saveexec_b32 s9, s8
	s_cbranch_execnz .LBB2_267
	s_branch .LBB2_268
.LBB2_338:                              ;   in Loop: Header=BB2_85 Depth=2
	s_or_b32 exec_lo, exec_lo, s19
.LBB2_339:                              ;   in Loop: Header=BB2_85 Depth=2
	s_delay_alu instid0(SALU_CYCLE_1)
	s_or_b32 exec_lo, exec_lo, s18
	s_and_saveexec_b32 s8, s3
	s_cbranch_execz .LBB2_361
; %bb.340:                              ;   in Loop: Header=BB2_85 Depth=2
	s_and_saveexec_b32 s9, s4
	s_delay_alu instid0(SALU_CYCLE_1)
	s_xor_b32 s9, exec_lo, s9
	s_cbranch_execz .LBB2_358
; %bb.341:                              ;   in Loop: Header=BB2_85 Depth=2
	s_and_saveexec_b32 s18, s5
	s_cbranch_execz .LBB2_357
; %bb.342:                              ;   in Loop: Header=BB2_85 Depth=2
	s_mov_b32 s20, exec_lo
	s_mov_b32 s19, exec_lo
	v_mbcnt_lo_u32_b32 v18, s20, 0
	s_waitcnt vmcnt(0) lgkmcnt(0)
	s_waitcnt_vscnt null, 0x0
	buffer_gl1_inv
	buffer_gl0_inv
	v_cmpx_eq_u32_e32 0, v18
	s_cbranch_execz .LBB2_344
; %bb.343:                              ;   in Loop: Header=BB2_85 Depth=2
	s_bcnt1_i32_b32 s20, s20
	s_delay_alu instid0(SALU_CYCLE_1)
	v_mov_b32_e32 v64, s20
	ds_add_u64 v0, v[64:65]
	s_cbranch_execnz .LBB2_682
.LBB2_344:                              ;   in Loop: Header=BB2_85 Depth=2
	s_or_b32 exec_lo, exec_lo, s19
	s_cbranch_execnz .LBB2_674
; %bb.345:                              ;   in Loop: Header=BB2_85 Depth=2
	ds_load_b64 v[18:19], v0
	v_add_co_u32 v2, vcc_lo, v2, v101
	v_add_co_ci_u32_e32 v3, vcc_lo, v3, v112, vcc_lo
	s_mov_b32 s19, exec_lo
	s_waitcnt lgkmcnt(0)
	s_delay_alu instid0(VALU_DEP_1)
	v_cmpx_lt_u64_e64 v[18:19], v[2:3]
	s_cbranch_execz .LBB2_356
; %bb.346:                              ;   in Loop: Header=BB2_85 Depth=2
	s_mov_b32 s20, 0
	s_mov_b32 s23, 0
                                        ; implicit-def: $sgpr21
                                        ; implicit-def: $sgpr22
	s_branch .LBB2_348
.LBB2_347:                              ;   in Loop: Header=BB2_348 Depth=3
	s_or_b32 exec_lo, exec_lo, s26
	s_delay_alu instid0(SALU_CYCLE_1) | instskip(NEXT) | instid1(SALU_CYCLE_1)
	s_and_b32 s24, exec_lo, s25
	s_or_b32 s20, s24, s20
	s_and_not1_b32 s21, s21, exec_lo
	s_and_b32 s24, s22, exec_lo
	s_delay_alu instid0(SALU_CYCLE_1)
	s_or_b32 s21, s21, s24
	s_and_not1_b32 exec_lo, exec_lo, s20
	s_cbranch_execz .LBB2_354
.LBB2_348:                              ;   Parent Loop BB2_32 Depth=1
                                        ;     Parent Loop BB2_85 Depth=2
                                        ; =>    This Inner Loop Header: Depth=3
	s_add_i32 s23, s23, 1
                                        ; implicit-def: $sgpr25
	s_delay_alu instid0(SALU_CYCLE_1) | instskip(SKIP_1) | instid1(SALU_CYCLE_1)
	s_cmpk_lg_i32 s23, 0x2710
	s_cselect_b32 s24, -1, 0
	s_and_b32 vcc_lo, exec_lo, s24
	s_cbranch_vccz .LBB2_352
.LBB2_349:                              ;   in Loop: Header=BB2_348 Depth=3
	s_and_not1_b32 s22, s22, exec_lo
	s_and_b32 s26, s25, exec_lo
	s_mov_b32 s25, -1
	s_or_b32 s22, s22, s26
	s_and_saveexec_b32 s26, s24
	s_cbranch_execz .LBB2_347
; %bb.350:                              ;   in Loop: Header=BB2_348 Depth=3
	s_sleep 1
	s_cbranch_execnz .LBB2_694
; %bb.351:                              ;   in Loop: Header=BB2_348 Depth=3
	ds_load_b64 v[18:19], v0
	s_and_not1_b32 s22, s22, exec_lo
	s_waitcnt lgkmcnt(0)
	v_cmp_ge_u64_e32 vcc_lo, v[18:19], v[2:3]
	s_or_not1_b32 s25, vcc_lo, exec_lo
	s_branch .LBB2_347
.LBB2_352:                              ;   in Loop: Header=BB2_348 Depth=3
	s_cbranch_execnz .LBB2_696
; %bb.353:                              ;   in Loop: Header=BB2_348 Depth=3
	ds_load_b64 v[18:19], v0
	s_and_not1_b32 s24, s24, exec_lo
	s_mov_b32 s23, 0
	s_mov_b32 s25, -1
	s_waitcnt lgkmcnt(0)
	flat_load_b32 v18, v[18:19] glc
	s_waitcnt vmcnt(0) lgkmcnt(0)
	buffer_gl1_inv
	buffer_gl0_inv
	v_cmp_eq_u32_e32 vcc_lo, 0, v18
	s_and_b32 s26, vcc_lo, exec_lo
	s_delay_alu instid0(SALU_CYCLE_1)
	s_or_b32 s24, s24, s26
	s_branch .LBB2_349
.LBB2_354:                              ;   in Loop: Header=BB2_85 Depth=2
	s_or_b32 exec_lo, exec_lo, s20
	s_and_saveexec_b32 s20, s21
	s_delay_alu instid0(SALU_CYCLE_1)
	s_xor_b32 s20, exec_lo, s20
	s_cbranch_execz .LBB2_356
; %bb.355:                              ;   in Loop: Header=BB2_85 Depth=2
	ds_store_b32 v0, v129
	s_cbranch_execnz .LBB2_715
.LBB2_356:                              ;   in Loop: Header=BB2_85 Depth=2
	s_or_b32 exec_lo, exec_lo, s19
	;;#ASMSTART
	s_wakeup
	;;#ASMEND
.LBB2_357:                              ;   in Loop: Header=BB2_85 Depth=2
	s_or_b32 exec_lo, exec_lo, s18
.LBB2_358:                              ;   in Loop: Header=BB2_85 Depth=2
	s_and_not1_saveexec_b32 s9, s9
	s_cbranch_execz .LBB2_360
; %bb.359:                              ;   in Loop: Header=BB2_85 Depth=2
	s_waitcnt vmcnt(0) lgkmcnt(0)
	s_waitcnt_vscnt null, 0x0
	buffer_gl1_inv
	buffer_gl0_inv
	s_barrier
.LBB2_360:                              ;   in Loop: Header=BB2_85 Depth=2
	s_or_b32 exec_lo, exec_lo, s9
.LBB2_361:                              ;   in Loop: Header=BB2_85 Depth=2
	s_delay_alu instid0(SALU_CYCLE_1)
	s_or_b32 exec_lo, exec_lo, s8
	s_and_saveexec_b32 s8, s6
	s_cbranch_execz .LBB2_363
; %bb.362:                              ;   in Loop: Header=BB2_85 Depth=2
	v_add_co_u32 v50, vcc_lo, v50, 1
	v_add_co_ci_u32_e32 v51, vcc_lo, 0, v51, vcc_lo
	s_waitcnt vmcnt(0) lgkmcnt(0)
	s_waitcnt_vscnt null, 0x0
	flat_store_b64 v[38:39], v[50:51]
.LBB2_363:                              ;   in Loop: Header=BB2_85 Depth=2
	s_or_b32 exec_lo, exec_lo, s8
	v_and_b32_e32 v64, 0x7ffffff8, v80
	v_cmp_gt_i32_e64 s8, s14, v84
	s_delay_alu instid0(VALU_DEP_2) | instskip(NEXT) | instid1(VALU_DEP_2)
	v_cmp_eq_u64_e32 vcc_lo, 0x7ffffff8, v[64:65]
	s_and_b32 s8, vcc_lo, s8
	s_delay_alu instid0(SALU_CYCLE_1)
	s_and_saveexec_b32 s9, s8
	s_cbranch_execz .LBB2_366
; %bb.364:                              ;   in Loop: Header=BB2_85 Depth=2
	v_and_b32_e32 v18, 7, v135
	v_ashrrev_i32_e32 v85, 31, v84
	v_mov_b32_e32 v22, v80
	s_mov_b32 s18, 0
	s_delay_alu instid0(VALU_DEP_3) | instskip(SKIP_2) | instid1(VALU_DEP_2)
	v_mul_lo_u32 v18, s14, v18
	s_waitcnt vmcnt(0) lgkmcnt(0)
	v_lshlrev_b64 v[20:21], 4, v[84:85]
	v_ashrrev_i32_e32 v19, 31, v18
	s_delay_alu instid0(VALU_DEP_1) | instskip(NEXT) | instid1(VALU_DEP_1)
	v_lshlrev_b64 v[18:19], 4, v[18:19]
	v_add_co_u32 v20, vcc_lo, v20, v18
	s_delay_alu instid0(VALU_DEP_2) | instskip(SKIP_2) | instid1(VALU_DEP_4)
	v_add_co_ci_u32_e32 v21, vcc_lo, v21, v19, vcc_lo
	v_add_co_u32 v18, vcc_lo, 0, 0
	v_add_co_ci_u32_e32 v19, vcc_lo, 1, v22, vcc_lo
	v_add_co_u32 v22, vcc_lo, v48, v20
	s_delay_alu instid0(VALU_DEP_4)
	v_add_co_ci_u32_e32 v23, vcc_lo, v49, v21, vcc_lo
.LBB2_365:                              ;   Parent Loop BB2_32 Depth=1
                                        ;     Parent Loop BB2_85 Depth=2
                                        ; =>    This Inner Loop Header: Depth=3
	s_delay_alu instid0(VALU_DEP_3) | instskip(SKIP_4) | instid1(VALU_DEP_1)
	v_dual_mov_b32 v20, v18 :: v_dual_mov_b32 v21, v19
	v_add_nc_u32_e32 v84, v84, v1
	global_store_b128 v[22:23], v[18:21], off
	v_cmp_le_i32_e32 vcc_lo, s14, v84
	v_add_co_u32 v22, s8, v22, v70
	v_add_co_ci_u32_e64 v23, s8, v23, v71, s8
	s_or_b32 s18, vcc_lo, s18
	s_delay_alu instid0(SALU_CYCLE_1)
	s_and_not1_b32 exec_lo, exec_lo, s18
	s_cbranch_execnz .LBB2_365
.LBB2_366:                              ;   in Loop: Header=BB2_85 Depth=2
	s_or_b32 exec_lo, exec_lo, s9
	v_add_co_u32 v34, vcc_lo, v34, 1
	v_add_co_ci_u32_e32 v35, vcc_lo, 0, v35, vcc_lo
	v_add_co_u32 v80, vcc_lo, v80, 1
	v_add_co_ci_u32_e32 v81, vcc_lo, 0, v81, vcc_lo
	v_add_nc_u16 v135, v135, 1
	s_add_i32 s17, s17, 1
	s_delay_alu instid0(SALU_CYCLE_1)
	s_cmp_eq_u32 s17, s10
	s_cbranch_scc0 .LBB2_85
.LBB2_367:                              ;   in Loop: Header=BB2_32 Depth=1
	s_delay_alu instid0(VALU_DEP_1)
	v_dual_mov_b32 v22, v80 :: v_dual_mov_b32 v23, v81
	s_and_saveexec_b32 s9, s7
	s_cbranch_execz .LBB2_599
; %bb.368:                              ;   in Loop: Header=BB2_32 Depth=1
	flat_load_b32 v64, v[24:25]
	v_and_b32_e32 v18, 7, v34
	s_waitcnt vmcnt(1) lgkmcnt(1)
	v_add_co_u32 v20, vcc_lo, v12, v133
	v_add_co_ci_u32_e32 v21, vcc_lo, v13, v134, vcc_lo
	s_delay_alu instid0(VALU_DEP_3) | instskip(SKIP_1) | instid1(VALU_DEP_1)
	v_mul_lo_u32 v18, v18, s14
	s_mov_b32 s17, 0
	v_ashrrev_i32_e32 v19, 31, v18
	s_delay_alu instid0(VALU_DEP_1)
	v_lshlrev_b64 v[18:19], 4, v[18:19]
	s_waitcnt vmcnt(0) lgkmcnt(0)
	v_ashrrev_i32_e32 v80, 31, v64
	v_mul_lo_u32 v84, v100, v64
	v_mad_u64_u32 v[82:83], null, v30, v64, v[20:21]
	v_add_nc_u32_e32 v64, 1, v34
	s_delay_alu instid0(VALU_DEP_4)
	v_mul_lo_u32 v20, v30, v80
	v_add_co_u32 v80, vcc_lo, v117, v133
	v_add_co_ci_u32_e32 v81, vcc_lo, v118, v134, vcc_lo
	v_add_co_u32 v85, vcc_lo, v32, v18
	v_add_co_ci_u32_e32 v86, vcc_lo, v33, v19, vcc_lo
	v_add3_u32 v20, v84, v83, v20
	v_add_co_u32 v87, vcc_lo, v82, v102
	v_mov_b32_e32 v82, v4
	s_delay_alu instid0(VALU_DEP_3)
	v_add_co_ci_u32_e32 v96, vcc_lo, v20, v113, vcc_lo
	s_branch .LBB2_370
.LBB2_369:                              ;   in Loop: Header=BB2_370 Depth=2
	v_sub_nc_u32_e32 v131, v131, v103
	v_add_co_u32 v87, vcc_lo, v87, v103
	v_add_co_ci_u32_e32 v96, vcc_lo, v96, v114, vcc_lo
	s_delay_alu instid0(VALU_DEP_3) | instskip(SKIP_1) | instid1(VALU_DEP_1)
	v_cmp_gt_i32_e32 vcc_lo, 1, v131
	v_add_co_u32 v80, s7, v80, v103
	v_add_co_ci_u32_e64 v81, s7, v81, v114, s7
	v_add_nc_u32_e32 v82, v82, v1
	s_or_b32 s17, vcc_lo, s17
	s_delay_alu instid0(SALU_CYCLE_1)
	s_and_not1_b32 exec_lo, exec_lo, s17
	s_cbranch_execz .LBB2_598
.LBB2_370:                              ;   Parent Loop BB2_32 Depth=1
                                        ; =>  This Loop Header: Depth=2
                                        ;       Child Loop BB2_378 Depth 3
	s_delay_alu instid0(VALU_DEP_1)
	v_dual_mov_b32 v19, v96 :: v_dual_and_b32 v18, -4, v87
	v_min_u32_e32 v20, 8, v131
	v_dual_mov_b32 v98, 0 :: v_dual_and_b32 v21, 3, v87
	v_mov_b32_e32 v97, 0
	flat_load_b32 v99, v[18:19] glc
	v_add_co_u32 v20, s7, v21, v20
	s_delay_alu instid0(VALU_DEP_1) | instskip(SKIP_1) | instid1(VALU_DEP_1)
	v_add_co_ci_u32_e64 v21, null, 0, 0, s7
	s_mov_b32 s7, exec_lo
	v_cmpx_lt_u64_e32 4, v[20:21]
	s_cbranch_execz .LBB2_372
; %bb.371:                              ;   in Loop: Header=BB2_370 Depth=2
	flat_load_b32 v98, v[18:19] offset:4 glc
.LBB2_372:                              ;   in Loop: Header=BB2_370 Depth=2
	s_or_b32 exec_lo, exec_lo, s7
	s_delay_alu instid0(SALU_CYCLE_1)
	s_mov_b32 s7, exec_lo
	v_cmpx_lt_u64_e32 8, v[20:21]
	s_cbranch_execz .LBB2_374
; %bb.373:                              ;   in Loop: Header=BB2_370 Depth=2
	flat_load_b32 v97, v[18:19] offset:8 glc
.LBB2_374:                              ;   in Loop: Header=BB2_370 Depth=2
	s_or_b32 exec_lo, exec_lo, s7
	v_ashrrev_i32_e32 v83, 31, v82
	s_delay_alu instid0(VALU_DEP_1) | instskip(NEXT) | instid1(VALU_DEP_1)
	v_lshlrev_b64 v[18:19], 4, v[82:83]
	v_add_co_u32 v83, vcc_lo, v85, v18
	s_delay_alu instid0(VALU_DEP_2)
	v_add_co_ci_u32_e32 v84, vcc_lo, v86, v19, vcc_lo
	v_cmp_eq_u32_e32 vcc_lo, 0, v130
	;;#ASMSTART
	global_load_b128 v[18:21], v[83:84], off glc slc dlc
s_waitcnt vmcnt(0)

	;;#ASMEND
	s_and_saveexec_b32 s18, vcc_lo
	s_cbranch_execz .LBB2_388
; %bb.375:                              ;   in Loop: Header=BB2_370 Depth=2
	v_cmp_ne_u32_e64 s7, v64, v19
	v_cmp_ne_u32_e64 s8, v64, v21
	v_mov_b32_e32 v130, 0
	s_delay_alu instid0(VALU_DEP_2) | instskip(NEXT) | instid1(SALU_CYCLE_1)
	s_or_b32 s7, s7, s8
	s_and_saveexec_b32 s8, s7
	s_cbranch_execz .LBB2_387
; %bb.376:                              ;   in Loop: Header=BB2_370 Depth=2
	v_cndmask_b32_e64 v132, 0, 1, vcc_lo
	s_mov_b32 s19, 0
                                        ; implicit-def: $sgpr20
                                        ; implicit-def: $sgpr21
	s_branch .LBB2_378
.LBB2_377:                              ;   in Loop: Header=BB2_378 Depth=3
	s_or_b32 exec_lo, exec_lo, s22
	s_delay_alu instid0(SALU_CYCLE_1) | instskip(NEXT) | instid1(SALU_CYCLE_1)
	s_and_b32 s7, exec_lo, s7
	s_or_b32 s19, s7, s19
	s_and_not1_b32 s7, s20, exec_lo
	s_and_b32 s20, s21, exec_lo
	s_delay_alu instid0(SALU_CYCLE_1)
	s_or_b32 s20, s7, s20
	s_and_not1_b32 exec_lo, exec_lo, s19
	s_cbranch_execz .LBB2_386
.LBB2_378:                              ;   Parent Loop BB2_32 Depth=1
                                        ;     Parent Loop BB2_370 Depth=2
                                        ; =>    This Inner Loop Header: Depth=3
	s_delay_alu instid0(VALU_DEP_1)
	v_add_nc_u32_e32 v132, 1, v132
	v_mov_b32_e32 v130, 0
	s_mov_b32 s7, -1
	s_mov_b32 s23, -1
	s_mov_b32 s22, exec_lo
	;;#ASMSTART
	global_load_b128 v[18:21], v[83:84], off glc slc dlc
s_waitcnt vmcnt(0)

	;;#ASMEND
	v_cmpx_eq_u32_e32 0x2710, v132
	s_cbranch_execz .LBB2_384
; %bb.379:                              ;   in Loop: Header=BB2_378 Depth=3
	s_cbranch_execnz .LBB2_641
; %bb.380:                              ;   in Loop: Header=BB2_378 Depth=3
	ds_load_b64 v[132:133], v0
	v_mov_b32_e32 v130, 0
	s_mov_b32 s24, -1
	s_mov_b32 s23, exec_lo
	s_waitcnt vmcnt(0) lgkmcnt(0)
	s_waitcnt_vscnt null, 0x0
	flat_load_b32 v133, v[132:133] glc
	s_waitcnt vmcnt(0) lgkmcnt(0)
	buffer_gl1_inv
	buffer_gl0_inv
	v_mov_b32_e32 v132, 0
	v_cmpx_ne_u32_e32 0, v133
	s_cbranch_execz .LBB2_383
; %bb.381:                              ;   in Loop: Header=BB2_378 Depth=3
	ds_store_b32 v0, v133
	s_cbranch_execnz .LBB2_653
; %bb.382:                              ;   in Loop: Header=BB2_378 Depth=3
	v_mov_b32_e32 v130, 1
	s_xor_b32 s24, exec_lo, -1
.LBB2_383:                              ;   in Loop: Header=BB2_378 Depth=3
	s_or_b32 exec_lo, exec_lo, s23
	s_delay_alu instid0(SALU_CYCLE_1)
	s_or_not1_b32 s23, s24, exec_lo
.LBB2_384:                              ;   in Loop: Header=BB2_378 Depth=3
	s_or_b32 exec_lo, exec_lo, s22
	s_delay_alu instid0(SALU_CYCLE_1)
	s_or_b32 s21, s21, exec_lo
	s_and_saveexec_b32 s22, s23
	s_cbranch_execz .LBB2_377
; %bb.385:                              ;   in Loop: Header=BB2_378 Depth=3
	v_cmp_eq_u32_e32 vcc_lo, v64, v19
	v_cmp_eq_u32_e64 s7, v64, v21
	s_and_not1_b32 s21, s21, exec_lo
	s_delay_alu instid0(VALU_DEP_1) | instskip(NEXT) | instid1(SALU_CYCLE_1)
	s_and_b32 s7, vcc_lo, s7
	s_or_not1_b32 s7, s7, exec_lo
	s_branch .LBB2_377
.LBB2_386:                              ;   in Loop: Header=BB2_370 Depth=2
	s_or_b32 exec_lo, exec_lo, s19
	s_xor_b32 s7, s20, -1
	s_delay_alu instid0(SALU_CYCLE_1) | instskip(NEXT) | instid1(SALU_CYCLE_1)
	s_and_saveexec_b32 s19, s7
	s_xor_b32 s7, exec_lo, s19
	s_delay_alu instid0(SALU_CYCLE_1) | instskip(NEXT) | instid1(SALU_CYCLE_1)
	s_and_not1_saveexec_b32 s7, s7
	s_or_b32 exec_lo, exec_lo, s7
.LBB2_387:                              ;   in Loop: Header=BB2_370 Depth=2
	s_delay_alu instid0(SALU_CYCLE_1)
	s_or_b32 exec_lo, exec_lo, s8
.LBB2_388:                              ;   in Loop: Header=BB2_370 Depth=2
	s_delay_alu instid0(SALU_CYCLE_1) | instskip(SKIP_3) | instid1(VALU_DEP_1)
	s_or_b32 exec_lo, exec_lo, s18
	v_and_b32_e32 v19, 0xff, v18
	s_mov_b32 s7, 0
	s_mov_b32 s18, exec_lo
                                        ; implicit-def: $sgpr8
	v_cmpx_lt_i16_e32 0x7f, v19
	s_xor_b32 s18, exec_lo, s18
	s_cbranch_execnz .LBB2_534
; %bb.389:                              ;   in Loop: Header=BB2_370 Depth=2
	s_or_saveexec_b32 s18, s18
	v_mov_b32_e32 v21, s8
	s_xor_b32 exec_lo, exec_lo, s18
	s_cbranch_execnz .LBB2_537
.LBB2_390:                              ;   in Loop: Header=BB2_370 Depth=2
	s_or_b32 exec_lo, exec_lo, s18
	s_and_saveexec_b32 s8, s7
	s_cbranch_execz .LBB2_392
.LBB2_391:                              ;   in Loop: Header=BB2_370 Depth=2
	v_and_b32_e32 v19, 7, v18
	v_bfe_u32 v84, v18, 3, 4
	s_delay_alu instid0(VALU_DEP_2) | instskip(NEXT) | instid1(VALU_DEP_2)
	v_clz_i32_u32_e32 v21, v19
	v_cmp_eq_u32_e32 vcc_lo, 0, v84
	s_delay_alu instid0(VALU_DEP_2) | instskip(NEXT) | instid1(VALU_DEP_1)
	v_min_u32_e32 v21, 32, v21
	v_subrev_nc_u32_e32 v83, 28, v21
	v_sub_nc_u32_e32 v21, 29, v21
	v_lshlrev_b32_e32 v132, 24, v18
	s_delay_alu instid0(VALU_DEP_3) | instskip(NEXT) | instid1(VALU_DEP_3)
	v_lshlrev_b32_e32 v83, v83, v18
	v_cndmask_b32_e32 v21, v84, v21, vcc_lo
	s_delay_alu instid0(VALU_DEP_2) | instskip(NEXT) | instid1(VALU_DEP_2)
	v_and_b32_e32 v83, 7, v83
	v_lshl_add_u32 v21, v21, 23, 0x3b800000
	s_delay_alu instid0(VALU_DEP_2) | instskip(SKIP_1) | instid1(VALU_DEP_2)
	v_cndmask_b32_e32 v19, v19, v83, vcc_lo
	v_and_b32_e32 v83, 0x80000000, v132
	v_lshlrev_b32_e32 v19, 20, v19
	s_delay_alu instid0(VALU_DEP_1)
	v_or3_b32 v21, v83, v21, v19
.LBB2_392:                              ;   in Loop: Header=BB2_370 Depth=2
	s_or_b32 exec_lo, exec_lo, s8
	v_lshlrev_b32_e32 v19, 3, v87
	s_mov_b32 s7, 0
	s_mov_b32 s18, exec_lo
                                        ; implicit-def: $sgpr8
	s_waitcnt vmcnt(0) lgkmcnt(0)
	s_delay_alu instid0(VALU_DEP_1) | instskip(NEXT) | instid1(VALU_DEP_1)
	v_alignbit_b32 v99, v98, v99, v19
	v_and_b32_e32 v84, 0xff, v99
	s_delay_alu instid0(VALU_DEP_1)
	v_cmpx_lt_i16_e32 0x7f, v84
	s_xor_b32 s18, exec_lo, s18
	s_cbranch_execnz .LBB2_538
; %bb.393:                              ;   in Loop: Header=BB2_370 Depth=2
	s_or_saveexec_b32 s18, s18
	v_mov_b32_e32 v83, s8
	s_xor_b32 exec_lo, exec_lo, s18
	s_cbranch_execnz .LBB2_541
.LBB2_394:                              ;   in Loop: Header=BB2_370 Depth=2
	s_or_b32 exec_lo, exec_lo, s18
	s_and_saveexec_b32 s8, s7
	s_cbranch_execz .LBB2_396
.LBB2_395:                              ;   in Loop: Header=BB2_370 Depth=2
	v_bfe_u32 v133, v99, 3, 4
	s_delay_alu instid0(VALU_DEP_1) | instskip(SKIP_1) | instid1(VALU_DEP_1)
	v_cmp_eq_u32_e32 vcc_lo, 0, v133
	v_and_b32_e32 v83, 7, v99
	v_clz_i32_u32_e32 v84, v83
	s_delay_alu instid0(VALU_DEP_1) | instskip(NEXT) | instid1(VALU_DEP_1)
	v_min_u32_e32 v84, 32, v84
	v_subrev_nc_u32_e32 v132, 28, v84
	v_sub_nc_u32_e32 v84, 29, v84
	s_delay_alu instid0(VALU_DEP_2) | instskip(NEXT) | instid1(VALU_DEP_2)
	v_lshlrev_b32_e32 v132, v132, v99
	v_cndmask_b32_e32 v84, v133, v84, vcc_lo
	s_delay_alu instid0(VALU_DEP_2) | instskip(SKIP_1) | instid1(VALU_DEP_3)
	v_and_b32_e32 v132, 7, v132
	v_lshlrev_b32_e32 v134, 24, v99
	v_lshl_add_u32 v84, v84, 23, 0x3b800000
	s_delay_alu instid0(VALU_DEP_2) | instskip(NEXT) | instid1(VALU_DEP_1)
	v_dual_cndmask_b32 v83, v83, v132 :: v_dual_and_b32 v132, 0x80000000, v134
	v_lshlrev_b32_e32 v83, 20, v83
	s_delay_alu instid0(VALU_DEP_1)
	v_or3_b32 v83, v132, v84, v83
.LBB2_396:                              ;   in Loop: Header=BB2_370 Depth=2
	s_or_b32 exec_lo, exec_lo, s8
	s_delay_alu instid0(VALU_DEP_1) | instskip(NEXT) | instid1(VALU_DEP_1)
	v_add_f32_e32 v83, v21, v83
	v_and_b32_e32 v21, 0x7f800000, v83
	s_delay_alu instid0(VALU_DEP_1)
	v_cmp_ne_u32_e32 vcc_lo, 0x7f800000, v21
	v_mov_b32_e32 v21, 0x80
	s_and_saveexec_b32 s8, vcc_lo
	s_cbranch_execz .LBB2_404
; %bb.397:                              ;   in Loop: Header=BB2_370 Depth=2
	v_mov_b32_e32 v21, 0
	s_mov_b32 s18, exec_lo
	v_cmpx_ne_u32_e32 0, v83
	s_cbranch_execz .LBB2_403
; %bb.398:                              ;   in Loop: Header=BB2_370 Depth=2
	v_bfe_u32 v21, v83, 23, 8
	v_and_b32_e32 v84, 0x7fffff, v83
	s_delay_alu instid0(VALU_DEP_2) | instskip(SKIP_1) | instid1(VALU_DEP_3)
	v_sub_nc_u32_e32 v132, 0x78, v21
	v_cmp_gt_u32_e32 vcc_lo, 0x79, v21
	v_or_b32_e32 v133, 0x800000, v84
	s_delay_alu instid0(VALU_DEP_3) | instskip(SKIP_2) | instid1(VALU_DEP_3)
	v_cndmask_b32_e32 v132, 0, v132, vcc_lo
	v_cmp_eq_u32_e32 vcc_lo, 0, v21
	v_add_nc_u32_e32 v21, 0xffffff89, v21
	v_cndmask_b32_e64 v132, v132, 0x77, vcc_lo
	v_cndmask_b32_e32 v84, v133, v84, vcc_lo
	s_delay_alu instid0(VALU_DEP_3) | instskip(NEXT) | instid1(VALU_DEP_3)
	v_cndmask_b32_e64 v21, v21, 0xffffff8a, vcc_lo
	v_lshl_add_u32 v133, 0x100000, v132, -1
	s_delay_alu instid0(VALU_DEP_3) | instskip(SKIP_1) | instid1(VALU_DEP_4)
	v_lshrrev_b32_e32 v134, v132, v84
	v_lshlrev_b32_e64 v144, v132, 0x80000
	v_add_nc_u32_e32 v132, v132, v21
	s_delay_alu instid0(VALU_DEP_4) | instskip(NEXT) | instid1(VALU_DEP_4)
	v_and_b32_e32 v84, v133, v84
	v_bfe_u32 v135, v134, 20, 1
	s_delay_alu instid0(VALU_DEP_2) | instskip(NEXT) | instid1(VALU_DEP_2)
	v_cmp_eq_u32_e64 s7, v84, v144
	v_add_nc_u32_e32 v133, -1, v135
	s_delay_alu instid0(VALU_DEP_1) | instskip(SKIP_2) | instid1(VALU_DEP_2)
	v_cndmask_b32_e64 v84, 0, v133, s7
	v_lshrrev_b32_e32 v133, 23, v134
	s_mov_b32 s7, exec_lo
	v_add_nc_u32_e32 v84, v84, v134
	s_delay_alu instid0(VALU_DEP_2) | instskip(NEXT) | instid1(VALU_DEP_2)
	v_xor_b32_e32 v133, 1, v133
	v_and_b32_e32 v21, 0xfffff, v84
	s_delay_alu instid0(VALU_DEP_1) | instskip(NEXT) | instid1(VALU_DEP_3)
	v_add_nc_u32_e32 v84, v21, v134
                                        ; implicit-def: $vgpr21
	v_cmpx_ne_u32_e64 v132, v133
	s_xor_b32 s7, exec_lo, s7
; %bb.399:                              ;   in Loop: Header=BB2_370 Depth=2
	s_delay_alu instid0(VALU_DEP_2) | instskip(SKIP_2) | instid1(VALU_DEP_2)
	v_cmp_lt_u32_e32 vcc_lo, 0xffffff, v84
	v_sub_nc_u32_e32 v21, v132, v133
	v_cndmask_b32_e64 v132, 0, 1, vcc_lo
	v_add_co_ci_u32_e32 v21, vcc_lo, 0, v21, vcc_lo
	s_delay_alu instid0(VALU_DEP_2)
	v_lshrrev_b32_e32 v84, v132, v84
; %bb.400:                              ;   in Loop: Header=BB2_370 Depth=2
	s_and_not1_saveexec_b32 s7, s7
; %bb.401:                              ;   in Loop: Header=BB2_370 Depth=2
	s_delay_alu instid0(VALU_DEP_1)
	v_bfe_u32 v21, v84, 23, 1
; %bb.402:                              ;   in Loop: Header=BB2_370 Depth=2
	s_or_b32 exec_lo, exec_lo, s7
	v_lshrrev_b32_e32 v84, 20, v84
	s_delay_alu instid0(VALU_DEP_2) | instskip(SKIP_2) | instid1(VALU_DEP_2)
	v_cmp_gt_i32_e32 vcc_lo, 16, v21
	v_lshrrev_b32_e32 v83, 24, v83
	v_min_i32_e32 v132, 15, v21
	v_dual_cndmask_b32 v84, 7, v84 :: v_dual_and_b32 v83, 0x80, v83
	s_delay_alu instid0(VALU_DEP_1) | instskip(SKIP_1) | instid1(VALU_DEP_2)
	v_or_b32_e32 v21, v21, v84
	v_and_b32_e32 v133, 7, v84
	v_cmp_ne_u32_e32 vcc_lo, 0, v21
	v_lshlrev_b32_e32 v132, 3, v132
	s_delay_alu instid0(VALU_DEP_1) | instskip(NEXT) | instid1(VALU_DEP_1)
	v_or3_b32 v83, v132, v83, v133
	v_cndmask_b32_e32 v21, 0, v83, vcc_lo
.LBB2_403:                              ;   in Loop: Header=BB2_370 Depth=2
	s_or_b32 exec_lo, exec_lo, s18
.LBB2_404:                              ;   in Loop: Header=BB2_370 Depth=2
	s_delay_alu instid0(SALU_CYCLE_1) | instskip(SKIP_3) | instid1(VALU_DEP_1)
	s_or_b32 exec_lo, exec_lo, s8
	v_lshrrev_b16 v84, 8, v18
	s_mov_b32 s7, 0
	s_mov_b32 s18, exec_lo
                                        ; implicit-def: $sgpr8
	v_cmpx_lt_i16_e32 0x7f, v84
	s_xor_b32 s18, exec_lo, s18
	s_cbranch_execnz .LBB2_542
; %bb.405:                              ;   in Loop: Header=BB2_370 Depth=2
	s_or_saveexec_b32 s18, s18
	v_mov_b32_e32 v83, s8
	s_xor_b32 exec_lo, exec_lo, s18
	s_cbranch_execnz .LBB2_545
.LBB2_406:                              ;   in Loop: Header=BB2_370 Depth=2
	s_or_b32 exec_lo, exec_lo, s18
	s_and_saveexec_b32 s8, s7
	s_cbranch_execz .LBB2_408
.LBB2_407:                              ;   in Loop: Header=BB2_370 Depth=2
	v_and_b32_e32 v83, 0xffff, v84
	v_lshlrev_b32_e32 v84, 24, v84
	s_delay_alu instid0(VALU_DEP_2) | instskip(NEXT) | instid1(VALU_DEP_2)
	v_and_b32_e32 v132, 7, v83
	v_and_b32_e32 v84, 0x80000000, v84
	s_delay_alu instid0(VALU_DEP_2) | instskip(NEXT) | instid1(VALU_DEP_1)
	v_clz_i32_u32_e32 v133, v132
	v_min_u32_e32 v133, 32, v133
	s_delay_alu instid0(VALU_DEP_1) | instskip(SKIP_1) | instid1(VALU_DEP_2)
	v_subrev_nc_u32_e32 v134, 28, v133
	v_sub_nc_u32_e32 v133, 29, v133
	v_lshlrev_b32_e32 v134, v134, v83
	v_bfe_u32 v83, v83, 3, 4
	s_delay_alu instid0(VALU_DEP_2) | instskip(NEXT) | instid1(VALU_DEP_2)
	v_and_b32_e32 v134, 7, v134
	v_cmp_eq_u32_e32 vcc_lo, 0, v83
	s_delay_alu instid0(VALU_DEP_2) | instskip(NEXT) | instid1(VALU_DEP_1)
	v_dual_cndmask_b32 v83, v83, v133 :: v_dual_cndmask_b32 v132, v132, v134
	v_lshl_add_u32 v83, v83, 23, 0x3b800000
	s_delay_alu instid0(VALU_DEP_2) | instskip(NEXT) | instid1(VALU_DEP_1)
	v_lshlrev_b32_e32 v132, 20, v132
	v_or3_b32 v83, v84, v83, v132
.LBB2_408:                              ;   in Loop: Header=BB2_370 Depth=2
	s_or_b32 exec_lo, exec_lo, s8
	v_lshrrev_b16 v84, 8, v99
	s_mov_b32 s7, 0
	s_mov_b32 s18, exec_lo
                                        ; implicit-def: $sgpr8
	s_delay_alu instid0(VALU_DEP_1)
	v_cmpx_lt_i16_e32 0x7f, v84
	s_xor_b32 s18, exec_lo, s18
	s_cbranch_execnz .LBB2_546
; %bb.409:                              ;   in Loop: Header=BB2_370 Depth=2
	s_or_saveexec_b32 s18, s18
	v_mov_b32_e32 v132, s8
	s_xor_b32 exec_lo, exec_lo, s18
	s_cbranch_execnz .LBB2_549
.LBB2_410:                              ;   in Loop: Header=BB2_370 Depth=2
	s_or_b32 exec_lo, exec_lo, s18
	s_and_saveexec_b32 s8, s7
	s_cbranch_execz .LBB2_412
.LBB2_411:                              ;   in Loop: Header=BB2_370 Depth=2
	v_and_b32_e32 v132, 0xffff, v84
	v_lshlrev_b32_e32 v84, 24, v84
	s_delay_alu instid0(VALU_DEP_2) | instskip(NEXT) | instid1(VALU_DEP_2)
	v_and_b32_e32 v133, 7, v132
	v_and_b32_e32 v84, 0x80000000, v84
	s_delay_alu instid0(VALU_DEP_2) | instskip(NEXT) | instid1(VALU_DEP_1)
	v_clz_i32_u32_e32 v134, v133
	v_min_u32_e32 v134, 32, v134
	s_delay_alu instid0(VALU_DEP_1) | instskip(SKIP_1) | instid1(VALU_DEP_2)
	v_subrev_nc_u32_e32 v135, 28, v134
	v_sub_nc_u32_e32 v134, 29, v134
	v_lshlrev_b32_e32 v135, v135, v132
	v_bfe_u32 v132, v132, 3, 4
	s_delay_alu instid0(VALU_DEP_2) | instskip(NEXT) | instid1(VALU_DEP_2)
	v_and_b32_e32 v135, 7, v135
	v_cmp_eq_u32_e32 vcc_lo, 0, v132
	s_delay_alu instid0(VALU_DEP_2) | instskip(NEXT) | instid1(VALU_DEP_1)
	v_dual_cndmask_b32 v132, v132, v134 :: v_dual_cndmask_b32 v133, v133, v135
	v_lshl_add_u32 v132, v132, 23, 0x3b800000
	s_delay_alu instid0(VALU_DEP_2) | instskip(NEXT) | instid1(VALU_DEP_1)
	v_lshlrev_b32_e32 v133, 20, v133
	v_or3_b32 v132, v84, v132, v133
.LBB2_412:                              ;   in Loop: Header=BB2_370 Depth=2
	s_or_b32 exec_lo, exec_lo, s8
	s_delay_alu instid0(VALU_DEP_1) | instskip(NEXT) | instid1(VALU_DEP_1)
	v_add_f32_e32 v84, v83, v132
	v_and_b32_e32 v83, 0x7f800000, v84
	s_delay_alu instid0(VALU_DEP_1)
	v_cmp_ne_u32_e32 vcc_lo, 0x7f800000, v83
	v_mov_b32_e32 v83, 0x80
	s_and_saveexec_b32 s8, vcc_lo
	s_cbranch_execz .LBB2_420
; %bb.413:                              ;   in Loop: Header=BB2_370 Depth=2
	v_mov_b32_e32 v83, 0
	s_mov_b32 s18, exec_lo
	v_cmpx_ne_u32_e32 0, v84
	s_cbranch_execz .LBB2_419
; %bb.414:                              ;   in Loop: Header=BB2_370 Depth=2
	v_bfe_u32 v83, v84, 23, 8
	s_delay_alu instid0(VALU_DEP_1) | instskip(SKIP_1) | instid1(VALU_DEP_2)
	v_sub_nc_u32_e32 v133, 0x78, v83
	v_cmp_gt_u32_e32 vcc_lo, 0x79, v83
	v_dual_cndmask_b32 v133, 0, v133 :: v_dual_and_b32 v132, 0x7fffff, v84
	s_delay_alu instid0(VALU_DEP_1) | instskip(SKIP_2) | instid1(VALU_DEP_4)
	v_or_b32_e32 v134, 0x800000, v132
	v_cmp_eq_u32_e32 vcc_lo, 0, v83
	v_add_nc_u32_e32 v83, 0xffffff89, v83
	v_cndmask_b32_e64 v133, v133, 0x77, vcc_lo
	s_delay_alu instid0(VALU_DEP_4) | instskip(NEXT) | instid1(VALU_DEP_3)
	v_cndmask_b32_e32 v132, v134, v132, vcc_lo
	v_cndmask_b32_e64 v83, v83, 0xffffff8a, vcc_lo
	s_delay_alu instid0(VALU_DEP_3) | instskip(NEXT) | instid1(VALU_DEP_3)
	v_lshl_add_u32 v134, 0x100000, v133, -1
	v_lshrrev_b32_e32 v135, v133, v132
	v_lshlrev_b32_e64 v145, v133, 0x80000
	s_delay_alu instid0(VALU_DEP_4) | instskip(NEXT) | instid1(VALU_DEP_4)
	v_add_nc_u32_e32 v133, v133, v83
	v_and_b32_e32 v132, v134, v132
	s_delay_alu instid0(VALU_DEP_4) | instskip(NEXT) | instid1(VALU_DEP_2)
	v_bfe_u32 v144, v135, 20, 1
	v_cmp_eq_u32_e64 s7, v132, v145
	s_delay_alu instid0(VALU_DEP_2) | instskip(NEXT) | instid1(VALU_DEP_1)
	v_add_nc_u32_e32 v134, -1, v144
	v_cndmask_b32_e64 v132, 0, v134, s7
	v_lshrrev_b32_e32 v134, 23, v135
	s_mov_b32 s7, exec_lo
	s_delay_alu instid0(VALU_DEP_2) | instskip(NEXT) | instid1(VALU_DEP_2)
	v_add_nc_u32_e32 v132, v132, v135
	v_xor_b32_e32 v134, 1, v134
	s_delay_alu instid0(VALU_DEP_2) | instskip(NEXT) | instid1(VALU_DEP_1)
	v_and_b32_e32 v83, 0xfffff, v132
	v_add_nc_u32_e32 v132, v83, v135
                                        ; implicit-def: $vgpr83
	s_delay_alu instid0(VALU_DEP_3)
	v_cmpx_ne_u32_e64 v133, v134
	s_xor_b32 s7, exec_lo, s7
; %bb.415:                              ;   in Loop: Header=BB2_370 Depth=2
	s_delay_alu instid0(VALU_DEP_2) | instskip(SKIP_2) | instid1(VALU_DEP_2)
	v_cmp_lt_u32_e32 vcc_lo, 0xffffff, v132
	v_sub_nc_u32_e32 v83, v133, v134
	v_cndmask_b32_e64 v133, 0, 1, vcc_lo
	v_add_co_ci_u32_e32 v83, vcc_lo, 0, v83, vcc_lo
	s_delay_alu instid0(VALU_DEP_2)
	v_lshrrev_b32_e32 v132, v133, v132
; %bb.416:                              ;   in Loop: Header=BB2_370 Depth=2
	s_and_not1_saveexec_b32 s7, s7
; %bb.417:                              ;   in Loop: Header=BB2_370 Depth=2
	s_delay_alu instid0(VALU_DEP_1)
	v_bfe_u32 v83, v132, 23, 1
; %bb.418:                              ;   in Loop: Header=BB2_370 Depth=2
	s_or_b32 exec_lo, exec_lo, s7
	v_lshrrev_b32_e32 v132, 20, v132
	s_delay_alu instid0(VALU_DEP_2) | instskip(SKIP_2) | instid1(VALU_DEP_4)
	v_cmp_gt_i32_e32 vcc_lo, 16, v83
	v_lshrrev_b32_e32 v84, 24, v84
	v_min_i32_e32 v133, 15, v83
	v_cndmask_b32_e32 v132, 7, v132, vcc_lo
	s_delay_alu instid0(VALU_DEP_3) | instskip(NEXT) | instid1(VALU_DEP_3)
	v_and_b32_e32 v84, 0x80, v84
	v_lshlrev_b32_e32 v133, 3, v133
	s_delay_alu instid0(VALU_DEP_3) | instskip(SKIP_1) | instid1(VALU_DEP_2)
	v_and_b32_e32 v134, 7, v132
	v_or_b32_e32 v83, v83, v132
	v_or3_b32 v84, v133, v84, v134
	s_delay_alu instid0(VALU_DEP_2) | instskip(NEXT) | instid1(VALU_DEP_2)
	v_cmp_ne_u32_e32 vcc_lo, 0, v83
	v_cndmask_b32_e32 v83, 0, v84, vcc_lo
.LBB2_419:                              ;   in Loop: Header=BB2_370 Depth=2
	s_or_b32 exec_lo, exec_lo, s18
.LBB2_420:                              ;   in Loop: Header=BB2_370 Depth=2
	s_delay_alu instid0(SALU_CYCLE_1) | instskip(SKIP_3) | instid1(VALU_DEP_1)
	s_or_b32 exec_lo, exec_lo, s8
	v_lshrrev_b32_e32 v132, 16, v18
	s_mov_b32 s7, 0
	s_mov_b32 s18, exec_lo
                                        ; implicit-def: $sgpr8
	v_and_b32_e32 v133, 0xff, v132
	s_delay_alu instid0(VALU_DEP_1)
	v_cmpx_lt_i16_e64 0x7f, v133
	s_xor_b32 s18, exec_lo, s18
	s_cbranch_execnz .LBB2_550
; %bb.421:                              ;   in Loop: Header=BB2_370 Depth=2
	s_or_saveexec_b32 s18, s18
	v_mov_b32_e32 v84, s8
	s_xor_b32 exec_lo, exec_lo, s18
	s_cbranch_execnz .LBB2_553
.LBB2_422:                              ;   in Loop: Header=BB2_370 Depth=2
	s_or_b32 exec_lo, exec_lo, s18
	s_and_saveexec_b32 s8, s7
	s_cbranch_execz .LBB2_424
.LBB2_423:                              ;   in Loop: Header=BB2_370 Depth=2
	v_bfe_u32 v84, v18, 16, 3
	s_delay_alu instid0(VALU_DEP_1) | instskip(NEXT) | instid1(VALU_DEP_1)
	v_clz_i32_u32_e32 v133, v84
	v_min_u32_e32 v133, 32, v133
	s_delay_alu instid0(VALU_DEP_1) | instskip(SKIP_1) | instid1(VALU_DEP_2)
	v_subrev_nc_u32_e32 v134, 28, v133
	v_sub_nc_u32_e32 v133, 29, v133
	v_lshlrev_b32_e32 v132, v134, v132
	v_bfe_u32 v134, v18, 19, 4
	s_delay_alu instid0(VALU_DEP_1) | instskip(NEXT) | instid1(VALU_DEP_3)
	v_cmp_eq_u32_e32 vcc_lo, 0, v134
	v_dual_cndmask_b32 v133, v134, v133 :: v_dual_and_b32 v132, 7, v132
	s_delay_alu instid0(VALU_DEP_1) | instskip(NEXT) | instid1(VALU_DEP_2)
	v_dual_cndmask_b32 v84, v84, v132 :: v_dual_lshlrev_b32 v135, 8, v18
	v_lshl_add_u32 v133, v133, 23, 0x3b800000
	s_delay_alu instid0(VALU_DEP_2) | instskip(NEXT) | instid1(VALU_DEP_3)
	v_and_b32_e32 v132, 0x80000000, v135
	v_lshlrev_b32_e32 v84, 20, v84
	s_delay_alu instid0(VALU_DEP_1)
	v_or3_b32 v84, v132, v133, v84
.LBB2_424:                              ;   in Loop: Header=BB2_370 Depth=2
	s_or_b32 exec_lo, exec_lo, s8
	v_lshrrev_b32_e32 v132, 16, v99
	s_mov_b32 s7, 0
	s_mov_b32 s18, exec_lo
                                        ; implicit-def: $sgpr8
	s_delay_alu instid0(VALU_DEP_1) | instskip(NEXT) | instid1(VALU_DEP_1)
	v_and_b32_e32 v134, 0xff, v132
	v_cmpx_lt_i16_e64 0x7f, v134
	s_xor_b32 s18, exec_lo, s18
	s_cbranch_execnz .LBB2_554
; %bb.425:                              ;   in Loop: Header=BB2_370 Depth=2
	s_or_saveexec_b32 s18, s18
	v_mov_b32_e32 v133, s8
	s_xor_b32 exec_lo, exec_lo, s18
	s_cbranch_execnz .LBB2_557
.LBB2_426:                              ;   in Loop: Header=BB2_370 Depth=2
	s_or_b32 exec_lo, exec_lo, s18
	s_and_saveexec_b32 s8, s7
	s_cbranch_execz .LBB2_428
.LBB2_427:                              ;   in Loop: Header=BB2_370 Depth=2
	v_bfe_u32 v133, v99, 16, 3
	v_lshlrev_b32_e32 v144, 8, v99
	s_delay_alu instid0(VALU_DEP_2) | instskip(NEXT) | instid1(VALU_DEP_1)
	v_clz_i32_u32_e32 v134, v133
	v_min_u32_e32 v134, 32, v134
	s_delay_alu instid0(VALU_DEP_1) | instskip(SKIP_1) | instid1(VALU_DEP_2)
	v_subrev_nc_u32_e32 v135, 28, v134
	v_sub_nc_u32_e32 v134, 29, v134
	v_lshlrev_b32_e32 v132, v135, v132
	v_bfe_u32 v135, v99, 19, 4
	s_delay_alu instid0(VALU_DEP_2) | instskip(NEXT) | instid1(VALU_DEP_2)
	v_and_b32_e32 v132, 7, v132
	v_cmp_eq_u32_e32 vcc_lo, 0, v135
	v_cndmask_b32_e32 v134, v135, v134, vcc_lo
	s_delay_alu instid0(VALU_DEP_3) | instskip(SKIP_1) | instid1(VALU_DEP_3)
	v_cndmask_b32_e32 v132, v133, v132, vcc_lo
	v_and_b32_e32 v133, 0x80000000, v144
	v_lshl_add_u32 v134, v134, 23, 0x3b800000
	s_delay_alu instid0(VALU_DEP_3) | instskip(NEXT) | instid1(VALU_DEP_1)
	v_lshlrev_b32_e32 v132, 20, v132
	v_or3_b32 v133, v133, v134, v132
.LBB2_428:                              ;   in Loop: Header=BB2_370 Depth=2
	s_or_b32 exec_lo, exec_lo, s8
	s_delay_alu instid0(VALU_DEP_1) | instskip(NEXT) | instid1(VALU_DEP_1)
	v_add_f32_e32 v132, v84, v133
	v_and_b32_e32 v84, 0x7f800000, v132
	s_delay_alu instid0(VALU_DEP_1)
	v_cmp_ne_u32_e32 vcc_lo, 0x7f800000, v84
	v_mov_b32_e32 v84, 0x80
	s_and_saveexec_b32 s8, vcc_lo
	s_cbranch_execz .LBB2_436
; %bb.429:                              ;   in Loop: Header=BB2_370 Depth=2
	v_mov_b32_e32 v84, 0
	s_mov_b32 s18, exec_lo
	v_cmpx_ne_u32_e32 0, v132
	s_cbranch_execz .LBB2_435
; %bb.430:                              ;   in Loop: Header=BB2_370 Depth=2
	v_bfe_u32 v84, v132, 23, 8
	s_delay_alu instid0(VALU_DEP_1) | instskip(SKIP_1) | instid1(VALU_DEP_2)
	v_sub_nc_u32_e32 v134, 0x78, v84
	v_cmp_gt_u32_e32 vcc_lo, 0x79, v84
	v_dual_cndmask_b32 v134, 0, v134 :: v_dual_and_b32 v133, 0x7fffff, v132
	s_delay_alu instid0(VALU_DEP_1) | instskip(SKIP_2) | instid1(VALU_DEP_4)
	v_or_b32_e32 v135, 0x800000, v133
	v_cmp_eq_u32_e32 vcc_lo, 0, v84
	v_add_nc_u32_e32 v84, 0xffffff89, v84
	v_cndmask_b32_e64 v134, v134, 0x77, vcc_lo
	s_delay_alu instid0(VALU_DEP_4) | instskip(NEXT) | instid1(VALU_DEP_3)
	v_cndmask_b32_e32 v133, v135, v133, vcc_lo
	v_cndmask_b32_e64 v84, v84, 0xffffff8a, vcc_lo
	s_delay_alu instid0(VALU_DEP_3) | instskip(NEXT) | instid1(VALU_DEP_3)
	v_lshl_add_u32 v135, 0x100000, v134, -1
	v_lshrrev_b32_e32 v144, v134, v133
	v_lshlrev_b32_e64 v146, v134, 0x80000
	s_delay_alu instid0(VALU_DEP_4) | instskip(NEXT) | instid1(VALU_DEP_4)
	v_add_nc_u32_e32 v134, v134, v84
	v_and_b32_e32 v133, v135, v133
	s_delay_alu instid0(VALU_DEP_4) | instskip(NEXT) | instid1(VALU_DEP_2)
	v_bfe_u32 v145, v144, 20, 1
	v_cmp_eq_u32_e64 s7, v133, v146
	s_delay_alu instid0(VALU_DEP_2) | instskip(NEXT) | instid1(VALU_DEP_1)
	v_add_nc_u32_e32 v135, -1, v145
	v_cndmask_b32_e64 v133, 0, v135, s7
	v_lshrrev_b32_e32 v135, 23, v144
	s_mov_b32 s7, exec_lo
	s_delay_alu instid0(VALU_DEP_2) | instskip(NEXT) | instid1(VALU_DEP_2)
	v_add_nc_u32_e32 v133, v133, v144
	v_xor_b32_e32 v135, 1, v135
	s_delay_alu instid0(VALU_DEP_2) | instskip(NEXT) | instid1(VALU_DEP_1)
	v_and_b32_e32 v84, 0xfffff, v133
	v_add_nc_u32_e32 v133, v84, v144
                                        ; implicit-def: $vgpr84
	s_delay_alu instid0(VALU_DEP_3)
	v_cmpx_ne_u32_e64 v134, v135
	s_xor_b32 s7, exec_lo, s7
; %bb.431:                              ;   in Loop: Header=BB2_370 Depth=2
	s_delay_alu instid0(VALU_DEP_2) | instskip(SKIP_2) | instid1(VALU_DEP_2)
	v_cmp_lt_u32_e32 vcc_lo, 0xffffff, v133
	v_sub_nc_u32_e32 v84, v134, v135
	v_cndmask_b32_e64 v134, 0, 1, vcc_lo
	v_add_co_ci_u32_e32 v84, vcc_lo, 0, v84, vcc_lo
	s_delay_alu instid0(VALU_DEP_2)
	v_lshrrev_b32_e32 v133, v134, v133
; %bb.432:                              ;   in Loop: Header=BB2_370 Depth=2
	s_and_not1_saveexec_b32 s7, s7
; %bb.433:                              ;   in Loop: Header=BB2_370 Depth=2
	s_delay_alu instid0(VALU_DEP_1)
	v_bfe_u32 v84, v133, 23, 1
; %bb.434:                              ;   in Loop: Header=BB2_370 Depth=2
	s_or_b32 exec_lo, exec_lo, s7
	v_lshrrev_b32_e32 v133, 20, v133
	s_delay_alu instid0(VALU_DEP_2) | instskip(SKIP_2) | instid1(VALU_DEP_2)
	v_cmp_gt_i32_e32 vcc_lo, 16, v84
	v_lshrrev_b32_e32 v132, 24, v132
	v_min_i32_e32 v134, 15, v84
	v_dual_cndmask_b32 v133, 7, v133 :: v_dual_and_b32 v132, 0x80, v132
	s_delay_alu instid0(VALU_DEP_2) | instskip(NEXT) | instid1(VALU_DEP_2)
	v_lshlrev_b32_e32 v134, 3, v134
	v_or_b32_e32 v84, v84, v133
	s_delay_alu instid0(VALU_DEP_1) | instskip(SKIP_1) | instid1(VALU_DEP_1)
	v_cmp_ne_u32_e32 vcc_lo, 0, v84
	v_and_b32_e32 v135, 7, v133
	v_or3_b32 v132, v134, v132, v135
	s_delay_alu instid0(VALU_DEP_1)
	v_cndmask_b32_e32 v84, 0, v132, vcc_lo
.LBB2_435:                              ;   in Loop: Header=BB2_370 Depth=2
	s_or_b32 exec_lo, exec_lo, s18
.LBB2_436:                              ;   in Loop: Header=BB2_370 Depth=2
	s_delay_alu instid0(SALU_CYCLE_1) | instskip(SKIP_3) | instid1(VALU_DEP_1)
	s_or_b32 exec_lo, exec_lo, s8
	v_lshrrev_b32_e32 v133, 24, v18
	s_mov_b32 s7, 0
	s_mov_b32 s18, exec_lo
                                        ; implicit-def: $sgpr8
	v_cmpx_lt_i16_e64 0x7f, v133
	s_xor_b32 s18, exec_lo, s18
	s_cbranch_execnz .LBB2_558
; %bb.437:                              ;   in Loop: Header=BB2_370 Depth=2
	s_or_saveexec_b32 s18, s18
	v_mov_b32_e32 v132, s8
	s_xor_b32 exec_lo, exec_lo, s18
	s_cbranch_execnz .LBB2_561
.LBB2_438:                              ;   in Loop: Header=BB2_370 Depth=2
	s_or_b32 exec_lo, exec_lo, s18
	s_and_saveexec_b32 s8, s7
	s_cbranch_execz .LBB2_440
.LBB2_439:                              ;   in Loop: Header=BB2_370 Depth=2
	v_bfe_u32 v132, v18, 24, 3
	s_delay_alu instid0(VALU_DEP_1) | instskip(NEXT) | instid1(VALU_DEP_1)
	v_clz_i32_u32_e32 v134, v132
	v_min_u32_e32 v134, 32, v134
	s_delay_alu instid0(VALU_DEP_1) | instskip(SKIP_1) | instid1(VALU_DEP_2)
	v_subrev_nc_u32_e32 v135, 28, v134
	v_sub_nc_u32_e32 v134, 29, v134
	v_lshlrev_b32_e32 v133, v135, v133
	v_bfe_u32 v135, v18, 27, 4
	v_and_b32_e32 v18, 0x80000000, v18
	s_delay_alu instid0(VALU_DEP_2) | instskip(NEXT) | instid1(VALU_DEP_4)
	v_cmp_eq_u32_e32 vcc_lo, 0, v135
	v_dual_cndmask_b32 v134, v135, v134 :: v_dual_and_b32 v133, 7, v133
	s_delay_alu instid0(VALU_DEP_1) | instskip(NEXT) | instid1(VALU_DEP_2)
	v_cndmask_b32_e32 v132, v132, v133, vcc_lo
	v_lshl_add_u32 v133, v134, 23, 0x3b800000
	s_delay_alu instid0(VALU_DEP_2) | instskip(NEXT) | instid1(VALU_DEP_1)
	v_lshlrev_b32_e32 v132, 20, v132
	v_or3_b32 v132, v18, v133, v132
.LBB2_440:                              ;   in Loop: Header=BB2_370 Depth=2
	s_or_b32 exec_lo, exec_lo, s8
	v_lshrrev_b32_e32 v18, 24, v99
	s_mov_b32 s7, 0
	s_mov_b32 s18, exec_lo
                                        ; implicit-def: $sgpr8
	s_delay_alu instid0(VALU_DEP_1)
	v_cmpx_lt_i16_e32 0x7f, v18
	s_xor_b32 s18, exec_lo, s18
	s_cbranch_execnz .LBB2_562
; %bb.441:                              ;   in Loop: Header=BB2_370 Depth=2
	s_or_saveexec_b32 s18, s18
	v_mov_b32_e32 v133, s8
	s_xor_b32 exec_lo, exec_lo, s18
	s_cbranch_execnz .LBB2_565
.LBB2_442:                              ;   in Loop: Header=BB2_370 Depth=2
	s_or_b32 exec_lo, exec_lo, s18
	s_and_saveexec_b32 s8, s7
	s_cbranch_execz .LBB2_444
.LBB2_443:                              ;   in Loop: Header=BB2_370 Depth=2
	v_bfe_u32 v133, v99, 24, 3
	s_delay_alu instid0(VALU_DEP_1) | instskip(NEXT) | instid1(VALU_DEP_1)
	v_clz_i32_u32_e32 v134, v133
	v_min_u32_e32 v134, 32, v134
	s_delay_alu instid0(VALU_DEP_1) | instskip(SKIP_1) | instid1(VALU_DEP_2)
	v_subrev_nc_u32_e32 v135, 28, v134
	v_sub_nc_u32_e32 v134, 29, v134
	v_lshlrev_b32_e32 v18, v135, v18
	v_bfe_u32 v135, v99, 27, 4
	v_and_b32_e32 v99, 0x80000000, v99
	s_delay_alu instid0(VALU_DEP_3) | instskip(NEXT) | instid1(VALU_DEP_3)
	v_and_b32_e32 v18, 7, v18
	v_cmp_eq_u32_e32 vcc_lo, 0, v135
	v_cndmask_b32_e32 v134, v135, v134, vcc_lo
	s_delay_alu instid0(VALU_DEP_3) | instskip(NEXT) | instid1(VALU_DEP_2)
	v_cndmask_b32_e32 v18, v133, v18, vcc_lo
	v_lshl_add_u32 v133, v134, 23, 0x3b800000
	s_delay_alu instid0(VALU_DEP_2) | instskip(NEXT) | instid1(VALU_DEP_1)
	v_lshlrev_b32_e32 v18, 20, v18
	v_or3_b32 v133, v99, v133, v18
.LBB2_444:                              ;   in Loop: Header=BB2_370 Depth=2
	s_or_b32 exec_lo, exec_lo, s8
	s_delay_alu instid0(VALU_DEP_1) | instskip(NEXT) | instid1(VALU_DEP_1)
	v_add_f32_e32 v99, v132, v133
	v_and_b32_e32 v18, 0x7f800000, v99
	s_delay_alu instid0(VALU_DEP_1)
	v_cmp_ne_u32_e32 vcc_lo, 0x7f800000, v18
	v_mov_b32_e32 v18, 0x80
	s_and_saveexec_b32 s8, vcc_lo
	s_cbranch_execz .LBB2_452
; %bb.445:                              ;   in Loop: Header=BB2_370 Depth=2
	v_mov_b32_e32 v18, 0
	s_mov_b32 s18, exec_lo
	v_cmpx_ne_u32_e32 0, v99
	s_cbranch_execz .LBB2_451
; %bb.446:                              ;   in Loop: Header=BB2_370 Depth=2
	v_bfe_u32 v18, v99, 23, 8
	s_delay_alu instid0(VALU_DEP_1) | instskip(SKIP_1) | instid1(VALU_DEP_2)
	v_sub_nc_u32_e32 v133, 0x78, v18
	v_cmp_gt_u32_e32 vcc_lo, 0x79, v18
	v_dual_cndmask_b32 v133, 0, v133 :: v_dual_and_b32 v132, 0x7fffff, v99
	s_delay_alu instid0(VALU_DEP_1) | instskip(SKIP_2) | instid1(VALU_DEP_4)
	v_or_b32_e32 v134, 0x800000, v132
	v_cmp_eq_u32_e32 vcc_lo, 0, v18
	v_add_nc_u32_e32 v18, 0xffffff89, v18
	v_cndmask_b32_e64 v133, v133, 0x77, vcc_lo
	s_delay_alu instid0(VALU_DEP_2) | instskip(SKIP_1) | instid1(VALU_DEP_3)
	v_cndmask_b32_e64 v18, v18, 0xffffff8a, vcc_lo
	v_cndmask_b32_e32 v132, v134, v132, vcc_lo
	v_lshl_add_u32 v134, 0x100000, v133, -1
	v_lshlrev_b32_e64 v145, v133, 0x80000
	s_delay_alu instid0(VALU_DEP_3) | instskip(SKIP_1) | instid1(VALU_DEP_4)
	v_lshrrev_b32_e32 v135, v133, v132
	v_add_nc_u32_e32 v133, v133, v18
	v_and_b32_e32 v132, v134, v132
	s_delay_alu instid0(VALU_DEP_3) | instskip(NEXT) | instid1(VALU_DEP_2)
	v_bfe_u32 v144, v135, 20, 1
	v_cmp_eq_u32_e64 s7, v132, v145
	s_delay_alu instid0(VALU_DEP_2) | instskip(NEXT) | instid1(VALU_DEP_1)
	v_add_nc_u32_e32 v134, -1, v144
	v_cndmask_b32_e64 v132, 0, v134, s7
	v_lshrrev_b32_e32 v134, 23, v135
	s_mov_b32 s7, exec_lo
	s_delay_alu instid0(VALU_DEP_2) | instskip(NEXT) | instid1(VALU_DEP_2)
	v_add_nc_u32_e32 v132, v132, v135
	v_xor_b32_e32 v134, 1, v134
	s_delay_alu instid0(VALU_DEP_2) | instskip(NEXT) | instid1(VALU_DEP_1)
	v_and_b32_e32 v18, 0xfffff, v132
	v_add_nc_u32_e32 v132, v18, v135
                                        ; implicit-def: $vgpr18
	s_delay_alu instid0(VALU_DEP_3)
	v_cmpx_ne_u32_e64 v133, v134
	s_xor_b32 s7, exec_lo, s7
; %bb.447:                              ;   in Loop: Header=BB2_370 Depth=2
	s_delay_alu instid0(VALU_DEP_2) | instskip(SKIP_2) | instid1(VALU_DEP_2)
	v_cmp_lt_u32_e32 vcc_lo, 0xffffff, v132
	v_sub_nc_u32_e32 v18, v133, v134
	v_cndmask_b32_e64 v133, 0, 1, vcc_lo
	v_add_co_ci_u32_e32 v18, vcc_lo, 0, v18, vcc_lo
	s_delay_alu instid0(VALU_DEP_2)
	v_lshrrev_b32_e32 v132, v133, v132
; %bb.448:                              ;   in Loop: Header=BB2_370 Depth=2
	s_and_not1_saveexec_b32 s7, s7
; %bb.449:                              ;   in Loop: Header=BB2_370 Depth=2
	s_delay_alu instid0(VALU_DEP_1)
	v_bfe_u32 v18, v132, 23, 1
; %bb.450:                              ;   in Loop: Header=BB2_370 Depth=2
	s_or_b32 exec_lo, exec_lo, s7
	v_lshrrev_b32_e32 v132, 20, v132
	s_delay_alu instid0(VALU_DEP_2) | instskip(SKIP_2) | instid1(VALU_DEP_2)
	v_cmp_gt_i32_e32 vcc_lo, 16, v18
	v_lshrrev_b32_e32 v99, 24, v99
	v_min_i32_e32 v133, 15, v18
	v_dual_cndmask_b32 v132, 7, v132 :: v_dual_and_b32 v99, 0x80, v99
	s_delay_alu instid0(VALU_DEP_1) | instskip(SKIP_1) | instid1(VALU_DEP_2)
	v_or_b32_e32 v18, v18, v132
	v_and_b32_e32 v134, 7, v132
	v_cmp_ne_u32_e32 vcc_lo, 0, v18
	v_lshlrev_b32_e32 v133, 3, v133
	s_delay_alu instid0(VALU_DEP_1) | instskip(NEXT) | instid1(VALU_DEP_1)
	v_or3_b32 v99, v133, v99, v134
	v_cndmask_b32_e32 v18, 0, v99, vcc_lo
.LBB2_451:                              ;   in Loop: Header=BB2_370 Depth=2
	s_or_b32 exec_lo, exec_lo, s18
.LBB2_452:                              ;   in Loop: Header=BB2_370 Depth=2
	s_delay_alu instid0(SALU_CYCLE_1) | instskip(SKIP_3) | instid1(VALU_DEP_1)
	s_or_b32 exec_lo, exec_lo, s8
	v_and_b32_e32 v99, 0xff, v20
	s_mov_b32 s7, 0
	s_mov_b32 s18, exec_lo
                                        ; implicit-def: $sgpr8
	v_cmpx_lt_i16_e32 0x7f, v99
	s_xor_b32 s18, exec_lo, s18
	s_cbranch_execnz .LBB2_566
; %bb.453:                              ;   in Loop: Header=BB2_370 Depth=2
	s_or_saveexec_b32 s18, s18
	v_mov_b32_e32 v132, s8
	s_xor_b32 exec_lo, exec_lo, s18
	s_cbranch_execnz .LBB2_569
.LBB2_454:                              ;   in Loop: Header=BB2_370 Depth=2
	s_or_b32 exec_lo, exec_lo, s18
	s_and_saveexec_b32 s8, s7
	s_cbranch_execz .LBB2_456
.LBB2_455:                              ;   in Loop: Header=BB2_370 Depth=2
	v_and_b32_e32 v99, 7, v20
	v_bfe_u32 v134, v20, 3, 4
	v_lshlrev_b32_e32 v135, 24, v20
	s_delay_alu instid0(VALU_DEP_3) | instskip(NEXT) | instid1(VALU_DEP_3)
	v_clz_i32_u32_e32 v132, v99
	v_cmp_eq_u32_e32 vcc_lo, 0, v134
	s_delay_alu instid0(VALU_DEP_2) | instskip(NEXT) | instid1(VALU_DEP_1)
	v_min_u32_e32 v132, 32, v132
	v_subrev_nc_u32_e32 v133, 28, v132
	v_sub_nc_u32_e32 v132, 29, v132
	s_delay_alu instid0(VALU_DEP_2) | instskip(NEXT) | instid1(VALU_DEP_1)
	v_lshlrev_b32_e32 v133, v133, v20
	v_dual_cndmask_b32 v132, v134, v132 :: v_dual_and_b32 v133, 7, v133
	s_delay_alu instid0(VALU_DEP_1) | instskip(NEXT) | instid1(VALU_DEP_2)
	v_lshl_add_u32 v132, v132, 23, 0x3b800000
	v_cndmask_b32_e32 v99, v99, v133, vcc_lo
	v_and_b32_e32 v133, 0x80000000, v135
	s_delay_alu instid0(VALU_DEP_2) | instskip(NEXT) | instid1(VALU_DEP_1)
	v_lshlrev_b32_e32 v99, 20, v99
	v_or3_b32 v132, v133, v132, v99
.LBB2_456:                              ;   in Loop: Header=BB2_370 Depth=2
	s_or_b32 exec_lo, exec_lo, s8
	v_alignbit_b32 v19, v97, v98, v19
	v_mov_b32_e32 v99, v20
	s_mov_b32 s7, 0
	s_mov_b32 s18, exec_lo
                                        ; implicit-def: $sgpr8
	s_delay_alu instid0(VALU_DEP_2) | instskip(NEXT) | instid1(VALU_DEP_1)
	v_and_b32_e32 v98, 0xff, v19
	v_cmpx_lt_i16_e32 0x7f, v98
	s_xor_b32 s18, exec_lo, s18
	s_cbranch_execnz .LBB2_570
; %bb.457:                              ;   in Loop: Header=BB2_370 Depth=2
	s_or_saveexec_b32 s18, s18
	v_mov_b32_e32 v97, s8
	s_xor_b32 exec_lo, exec_lo, s18
	s_cbranch_execnz .LBB2_573
.LBB2_458:                              ;   in Loop: Header=BB2_370 Depth=2
	s_or_b32 exec_lo, exec_lo, s18
	s_and_saveexec_b32 s8, s7
	s_cbranch_execz .LBB2_460
.LBB2_459:                              ;   in Loop: Header=BB2_370 Depth=2
	v_bfe_u32 v134, v19, 3, 4
	v_lshlrev_b32_e32 v135, 24, v19
	s_delay_alu instid0(VALU_DEP_2) | instskip(SKIP_1) | instid1(VALU_DEP_1)
	v_cmp_eq_u32_e32 vcc_lo, 0, v134
	v_and_b32_e32 v97, 7, v19
	v_clz_i32_u32_e32 v98, v97
	s_delay_alu instid0(VALU_DEP_1) | instskip(NEXT) | instid1(VALU_DEP_1)
	v_min_u32_e32 v98, 32, v98
	v_subrev_nc_u32_e32 v133, 28, v98
	v_sub_nc_u32_e32 v98, 29, v98
	s_delay_alu instid0(VALU_DEP_1) | instskip(NEXT) | instid1(VALU_DEP_1)
	v_dual_cndmask_b32 v98, v134, v98 :: v_dual_lshlrev_b32 v133, v133, v19
	v_and_b32_e32 v133, 7, v133
	s_delay_alu instid0(VALU_DEP_2) | instskip(NEXT) | instid1(VALU_DEP_2)
	v_lshl_add_u32 v98, v98, 23, 0x3b800000
	v_cndmask_b32_e32 v97, v97, v133, vcc_lo
	v_and_b32_e32 v133, 0x80000000, v135
	s_delay_alu instid0(VALU_DEP_2) | instskip(NEXT) | instid1(VALU_DEP_1)
	v_lshlrev_b32_e32 v97, 20, v97
	v_or3_b32 v97, v133, v98, v97
.LBB2_460:                              ;   in Loop: Header=BB2_370 Depth=2
	s_or_b32 exec_lo, exec_lo, s8
	s_delay_alu instid0(VALU_DEP_1) | instskip(NEXT) | instid1(VALU_DEP_1)
	v_add_f32_e32 v98, v132, v97
	v_and_b32_e32 v97, 0x7f800000, v98
	s_delay_alu instid0(VALU_DEP_1)
	v_cmp_ne_u32_e32 vcc_lo, 0x7f800000, v97
	v_mov_b32_e32 v97, 0x80
	s_and_saveexec_b32 s8, vcc_lo
	s_cbranch_execz .LBB2_468
; %bb.461:                              ;   in Loop: Header=BB2_370 Depth=2
	v_mov_b32_e32 v97, 0
	s_mov_b32 s18, exec_lo
	v_cmpx_ne_u32_e32 0, v98
	s_cbranch_execz .LBB2_467
; %bb.462:                              ;   in Loop: Header=BB2_370 Depth=2
	v_bfe_u32 v97, v98, 23, 8
	s_delay_alu instid0(VALU_DEP_1) | instskip(SKIP_1) | instid1(VALU_DEP_2)
	v_sub_nc_u32_e32 v133, 0x78, v97
	v_cmp_gt_u32_e32 vcc_lo, 0x79, v97
	v_dual_cndmask_b32 v133, 0, v133 :: v_dual_and_b32 v132, 0x7fffff, v98
	s_delay_alu instid0(VALU_DEP_1) | instskip(SKIP_2) | instid1(VALU_DEP_4)
	v_or_b32_e32 v134, 0x800000, v132
	v_cmp_eq_u32_e32 vcc_lo, 0, v97
	v_add_nc_u32_e32 v97, 0xffffff89, v97
	v_cndmask_b32_e64 v133, v133, 0x77, vcc_lo
	s_delay_alu instid0(VALU_DEP_4) | instskip(NEXT) | instid1(VALU_DEP_3)
	v_cndmask_b32_e32 v132, v134, v132, vcc_lo
	v_cndmask_b32_e64 v97, v97, 0xffffff8a, vcc_lo
	s_delay_alu instid0(VALU_DEP_3) | instskip(NEXT) | instid1(VALU_DEP_3)
	v_lshl_add_u32 v134, 0x100000, v133, -1
	v_lshrrev_b32_e32 v135, v133, v132
	v_lshlrev_b32_e64 v145, v133, 0x80000
	s_delay_alu instid0(VALU_DEP_4) | instskip(NEXT) | instid1(VALU_DEP_4)
	v_add_nc_u32_e32 v133, v133, v97
	v_and_b32_e32 v132, v134, v132
	s_delay_alu instid0(VALU_DEP_4) | instskip(NEXT) | instid1(VALU_DEP_2)
	v_bfe_u32 v144, v135, 20, 1
	v_cmp_eq_u32_e64 s7, v132, v145
	s_delay_alu instid0(VALU_DEP_2) | instskip(NEXT) | instid1(VALU_DEP_1)
	v_add_nc_u32_e32 v134, -1, v144
	v_cndmask_b32_e64 v132, 0, v134, s7
	v_lshrrev_b32_e32 v134, 23, v135
	s_mov_b32 s7, exec_lo
	s_delay_alu instid0(VALU_DEP_2) | instskip(NEXT) | instid1(VALU_DEP_2)
	v_add_nc_u32_e32 v132, v132, v135
	v_xor_b32_e32 v134, 1, v134
	s_delay_alu instid0(VALU_DEP_2) | instskip(NEXT) | instid1(VALU_DEP_1)
	v_and_b32_e32 v97, 0xfffff, v132
	v_add_nc_u32_e32 v132, v97, v135
                                        ; implicit-def: $vgpr97
	s_delay_alu instid0(VALU_DEP_3)
	v_cmpx_ne_u32_e64 v133, v134
	s_xor_b32 s7, exec_lo, s7
; %bb.463:                              ;   in Loop: Header=BB2_370 Depth=2
	s_delay_alu instid0(VALU_DEP_2) | instskip(SKIP_2) | instid1(VALU_DEP_2)
	v_cmp_lt_u32_e32 vcc_lo, 0xffffff, v132
	v_sub_nc_u32_e32 v97, v133, v134
	v_cndmask_b32_e64 v133, 0, 1, vcc_lo
	v_add_co_ci_u32_e32 v97, vcc_lo, 0, v97, vcc_lo
	s_delay_alu instid0(VALU_DEP_2)
	v_lshrrev_b32_e32 v132, v133, v132
; %bb.464:                              ;   in Loop: Header=BB2_370 Depth=2
	s_and_not1_saveexec_b32 s7, s7
; %bb.465:                              ;   in Loop: Header=BB2_370 Depth=2
	s_delay_alu instid0(VALU_DEP_1)
	v_bfe_u32 v97, v132, 23, 1
; %bb.466:                              ;   in Loop: Header=BB2_370 Depth=2
	s_or_b32 exec_lo, exec_lo, s7
	v_lshrrev_b32_e32 v132, 20, v132
	s_delay_alu instid0(VALU_DEP_2) | instskip(SKIP_2) | instid1(VALU_DEP_2)
	v_cmp_gt_i32_e32 vcc_lo, 16, v97
	v_min_i32_e32 v133, 15, v97
	v_lshrrev_b32_e32 v98, 24, v98
	v_dual_cndmask_b32 v132, 7, v132 :: v_dual_lshlrev_b32 v133, 3, v133
	s_delay_alu instid0(VALU_DEP_2) | instskip(NEXT) | instid1(VALU_DEP_2)
	v_and_b32_e32 v98, 0x80, v98
	v_or_b32_e32 v97, v97, v132
	s_delay_alu instid0(VALU_DEP_1) | instskip(SKIP_1) | instid1(VALU_DEP_1)
	v_cmp_ne_u32_e32 vcc_lo, 0, v97
	v_and_b32_e32 v134, 7, v132
	v_or3_b32 v98, v133, v98, v134
	s_delay_alu instid0(VALU_DEP_1)
	v_cndmask_b32_e32 v97, 0, v98, vcc_lo
.LBB2_467:                              ;   in Loop: Header=BB2_370 Depth=2
	s_or_b32 exec_lo, exec_lo, s18
.LBB2_468:                              ;   in Loop: Header=BB2_370 Depth=2
	s_delay_alu instid0(SALU_CYCLE_1) | instskip(SKIP_3) | instid1(VALU_DEP_1)
	s_or_b32 exec_lo, exec_lo, s8
	v_lshrrev_b16 v99, 8, v99
	s_mov_b32 s7, 0
	s_mov_b32 s18, exec_lo
                                        ; implicit-def: $sgpr8
	v_cmpx_lt_i16_e32 0x7f, v99
	s_xor_b32 s18, exec_lo, s18
	s_cbranch_execnz .LBB2_574
; %bb.469:                              ;   in Loop: Header=BB2_370 Depth=2
	s_or_saveexec_b32 s18, s18
	v_mov_b32_e32 v98, s8
	s_xor_b32 exec_lo, exec_lo, s18
	s_cbranch_execnz .LBB2_577
.LBB2_470:                              ;   in Loop: Header=BB2_370 Depth=2
	s_or_b32 exec_lo, exec_lo, s18
	s_and_saveexec_b32 s8, s7
	s_cbranch_execz .LBB2_472
.LBB2_471:                              ;   in Loop: Header=BB2_370 Depth=2
	v_and_b32_e32 v98, 0xffff, v99
	s_delay_alu instid0(VALU_DEP_1) | instskip(NEXT) | instid1(VALU_DEP_1)
	v_and_b32_e32 v132, 7, v98
	v_clz_i32_u32_e32 v133, v132
	s_delay_alu instid0(VALU_DEP_1) | instskip(NEXT) | instid1(VALU_DEP_1)
	v_min_u32_e32 v133, 32, v133
	v_subrev_nc_u32_e32 v134, 28, v133
	v_sub_nc_u32_e32 v133, 29, v133
	s_delay_alu instid0(VALU_DEP_2) | instskip(SKIP_1) | instid1(VALU_DEP_2)
	v_lshlrev_b32_e32 v134, v134, v98
	v_bfe_u32 v98, v98, 3, 4
	v_and_b32_e32 v134, 7, v134
	s_delay_alu instid0(VALU_DEP_2) | instskip(SKIP_1) | instid1(VALU_DEP_1)
	v_cmp_eq_u32_e32 vcc_lo, 0, v98
	v_dual_cndmask_b32 v98, v98, v133 :: v_dual_lshlrev_b32 v99, 24, v99
	v_dual_cndmask_b32 v132, v132, v134 :: v_dual_and_b32 v99, 0x80000000, v99
	s_delay_alu instid0(VALU_DEP_2) | instskip(NEXT) | instid1(VALU_DEP_2)
	v_lshl_add_u32 v98, v98, 23, 0x3b800000
	v_lshlrev_b32_e32 v132, 20, v132
	s_delay_alu instid0(VALU_DEP_1)
	v_or3_b32 v98, v99, v98, v132
.LBB2_472:                              ;   in Loop: Header=BB2_370 Depth=2
	s_or_b32 exec_lo, exec_lo, s8
	v_lshrrev_b16 v99, 8, v19
	s_mov_b32 s7, 0
	s_mov_b32 s18, exec_lo
                                        ; implicit-def: $sgpr8
	s_delay_alu instid0(VALU_DEP_1)
	v_cmpx_lt_i16_e32 0x7f, v99
	s_xor_b32 s18, exec_lo, s18
	s_cbranch_execnz .LBB2_578
; %bb.473:                              ;   in Loop: Header=BB2_370 Depth=2
	s_or_saveexec_b32 s18, s18
	v_mov_b32_e32 v132, s8
	s_xor_b32 exec_lo, exec_lo, s18
	s_cbranch_execnz .LBB2_581
.LBB2_474:                              ;   in Loop: Header=BB2_370 Depth=2
	s_or_b32 exec_lo, exec_lo, s18
	s_and_saveexec_b32 s8, s7
	s_cbranch_execz .LBB2_476
.LBB2_475:                              ;   in Loop: Header=BB2_370 Depth=2
	v_and_b32_e32 v132, 0xffff, v99
	v_lshlrev_b32_e32 v99, 24, v99
	s_delay_alu instid0(VALU_DEP_2) | instskip(NEXT) | instid1(VALU_DEP_2)
	v_and_b32_e32 v133, 7, v132
	v_and_b32_e32 v99, 0x80000000, v99
	s_delay_alu instid0(VALU_DEP_2) | instskip(NEXT) | instid1(VALU_DEP_1)
	v_clz_i32_u32_e32 v134, v133
	v_min_u32_e32 v134, 32, v134
	s_delay_alu instid0(VALU_DEP_1) | instskip(SKIP_1) | instid1(VALU_DEP_2)
	v_subrev_nc_u32_e32 v135, 28, v134
	v_sub_nc_u32_e32 v134, 29, v134
	v_lshlrev_b32_e32 v135, v135, v132
	v_bfe_u32 v132, v132, 3, 4
	s_delay_alu instid0(VALU_DEP_2) | instskip(NEXT) | instid1(VALU_DEP_2)
	v_and_b32_e32 v135, 7, v135
	v_cmp_eq_u32_e32 vcc_lo, 0, v132
	s_delay_alu instid0(VALU_DEP_2) | instskip(NEXT) | instid1(VALU_DEP_1)
	v_dual_cndmask_b32 v132, v132, v134 :: v_dual_cndmask_b32 v133, v133, v135
	v_lshl_add_u32 v132, v132, 23, 0x3b800000
	s_delay_alu instid0(VALU_DEP_2) | instskip(NEXT) | instid1(VALU_DEP_1)
	v_lshlrev_b32_e32 v133, 20, v133
	v_or3_b32 v132, v99, v132, v133
.LBB2_476:                              ;   in Loop: Header=BB2_370 Depth=2
	s_or_b32 exec_lo, exec_lo, s8
	s_delay_alu instid0(VALU_DEP_1) | instskip(NEXT) | instid1(VALU_DEP_1)
	v_add_f32_e32 v99, v98, v132
	v_and_b32_e32 v98, 0x7f800000, v99
	s_delay_alu instid0(VALU_DEP_1)
	v_cmp_ne_u32_e32 vcc_lo, 0x7f800000, v98
	v_mov_b32_e32 v98, 0x8000
	s_and_saveexec_b32 s8, vcc_lo
	s_cbranch_execz .LBB2_484
; %bb.477:                              ;   in Loop: Header=BB2_370 Depth=2
	v_mov_b32_e32 v98, 0
	s_mov_b32 s18, exec_lo
	v_cmpx_ne_u32_e32 0, v99
	s_cbranch_execz .LBB2_483
; %bb.478:                              ;   in Loop: Header=BB2_370 Depth=2
	v_bfe_u32 v98, v99, 23, 8
	s_delay_alu instid0(VALU_DEP_1) | instskip(SKIP_1) | instid1(VALU_DEP_2)
	v_sub_nc_u32_e32 v133, 0x78, v98
	v_cmp_gt_u32_e32 vcc_lo, 0x79, v98
	v_dual_cndmask_b32 v133, 0, v133 :: v_dual_and_b32 v132, 0x7fffff, v99
	s_delay_alu instid0(VALU_DEP_1) | instskip(SKIP_2) | instid1(VALU_DEP_4)
	v_or_b32_e32 v134, 0x800000, v132
	v_cmp_eq_u32_e32 vcc_lo, 0, v98
	v_add_nc_u32_e32 v98, 0xffffff89, v98
	v_cndmask_b32_e64 v133, v133, 0x77, vcc_lo
	s_delay_alu instid0(VALU_DEP_2) | instskip(SKIP_1) | instid1(VALU_DEP_3)
	v_cndmask_b32_e64 v98, v98, 0xffffff8a, vcc_lo
	v_cndmask_b32_e32 v132, v134, v132, vcc_lo
	v_lshl_add_u32 v134, 0x100000, v133, -1
	v_lshlrev_b32_e64 v145, v133, 0x80000
	s_delay_alu instid0(VALU_DEP_3) | instskip(SKIP_1) | instid1(VALU_DEP_4)
	v_lshrrev_b32_e32 v135, v133, v132
	v_add_nc_u32_e32 v133, v133, v98
	v_and_b32_e32 v132, v134, v132
	s_delay_alu instid0(VALU_DEP_3) | instskip(NEXT) | instid1(VALU_DEP_2)
	v_bfe_u32 v144, v135, 20, 1
	v_cmp_eq_u32_e64 s7, v132, v145
	s_delay_alu instid0(VALU_DEP_2) | instskip(NEXT) | instid1(VALU_DEP_1)
	v_add_nc_u32_e32 v134, -1, v144
	v_cndmask_b32_e64 v132, 0, v134, s7
	v_lshrrev_b32_e32 v134, 23, v135
	s_mov_b32 s7, exec_lo
	s_delay_alu instid0(VALU_DEP_2) | instskip(NEXT) | instid1(VALU_DEP_2)
	v_add_nc_u32_e32 v132, v132, v135
	v_xor_b32_e32 v134, 1, v134
	s_delay_alu instid0(VALU_DEP_2) | instskip(NEXT) | instid1(VALU_DEP_1)
	v_and_b32_e32 v98, 0xfffff, v132
	v_add_nc_u32_e32 v132, v98, v135
                                        ; implicit-def: $vgpr98
	s_delay_alu instid0(VALU_DEP_3)
	v_cmpx_ne_u32_e64 v133, v134
	s_xor_b32 s7, exec_lo, s7
; %bb.479:                              ;   in Loop: Header=BB2_370 Depth=2
	s_delay_alu instid0(VALU_DEP_2) | instskip(SKIP_2) | instid1(VALU_DEP_2)
	v_cmp_lt_u32_e32 vcc_lo, 0xffffff, v132
	v_sub_nc_u32_e32 v98, v133, v134
	v_cndmask_b32_e64 v133, 0, 1, vcc_lo
	v_add_co_ci_u32_e32 v98, vcc_lo, 0, v98, vcc_lo
	s_delay_alu instid0(VALU_DEP_2)
	v_lshrrev_b32_e32 v132, v133, v132
; %bb.480:                              ;   in Loop: Header=BB2_370 Depth=2
	s_and_not1_saveexec_b32 s7, s7
; %bb.481:                              ;   in Loop: Header=BB2_370 Depth=2
	s_delay_alu instid0(VALU_DEP_1)
	v_bfe_u32 v98, v132, 23, 1
; %bb.482:                              ;   in Loop: Header=BB2_370 Depth=2
	s_or_b32 exec_lo, exec_lo, s7
	v_lshrrev_b32_e32 v132, 20, v132
	s_delay_alu instid0(VALU_DEP_2) | instskip(SKIP_2) | instid1(VALU_DEP_2)
	v_cmp_gt_i32_e32 vcc_lo, 16, v98
	v_min_i32_e32 v133, 15, v98
	v_lshrrev_b32_e32 v99, 24, v99
	v_dual_cndmask_b32 v132, 7, v132 :: v_dual_lshlrev_b32 v133, 3, v133
	s_delay_alu instid0(VALU_DEP_2) | instskip(NEXT) | instid1(VALU_DEP_2)
	v_and_b32_e32 v99, 0x80, v99
	v_or_b32_e32 v98, v98, v132
	v_and_b32_e32 v134, 7, v132
	s_delay_alu instid0(VALU_DEP_2) | instskip(SKIP_1) | instid1(VALU_DEP_1)
	v_cmp_ne_u32_e32 vcc_lo, 0, v98
	v_and_b32_e32 v133, 0xf8, v133
	v_or3_b32 v99, v99, v133, v134
	s_delay_alu instid0(VALU_DEP_1) | instskip(NEXT) | instid1(VALU_DEP_1)
	v_lshlrev_b32_e32 v99, 8, v99
	v_cndmask_b32_e32 v98, 0, v99, vcc_lo
.LBB2_483:                              ;   in Loop: Header=BB2_370 Depth=2
	s_or_b32 exec_lo, exec_lo, s18
.LBB2_484:                              ;   in Loop: Header=BB2_370 Depth=2
	s_delay_alu instid0(SALU_CYCLE_1) | instskip(SKIP_3) | instid1(VALU_DEP_1)
	s_or_b32 exec_lo, exec_lo, s8
	v_lshrrev_b32_e32 v132, 16, v20
	s_mov_b32 s7, 0
	s_mov_b32 s18, exec_lo
                                        ; implicit-def: $sgpr8
	v_and_b32_e32 v133, 0xff, v132
	s_delay_alu instid0(VALU_DEP_1)
	v_cmpx_lt_i16_e64 0x7f, v133
	s_xor_b32 s18, exec_lo, s18
	s_cbranch_execnz .LBB2_582
; %bb.485:                              ;   in Loop: Header=BB2_370 Depth=2
	s_or_saveexec_b32 s18, s18
	v_mov_b32_e32 v99, s8
	s_xor_b32 exec_lo, exec_lo, s18
	s_cbranch_execnz .LBB2_585
.LBB2_486:                              ;   in Loop: Header=BB2_370 Depth=2
	s_or_b32 exec_lo, exec_lo, s18
	s_and_saveexec_b32 s8, s7
	s_cbranch_execz .LBB2_488
.LBB2_487:                              ;   in Loop: Header=BB2_370 Depth=2
	v_bfe_u32 v99, v20, 16, 3
	v_lshlrev_b32_e32 v135, 8, v20
	s_delay_alu instid0(VALU_DEP_2) | instskip(NEXT) | instid1(VALU_DEP_1)
	v_clz_i32_u32_e32 v133, v99
	v_min_u32_e32 v133, 32, v133
	s_delay_alu instid0(VALU_DEP_1) | instskip(SKIP_1) | instid1(VALU_DEP_2)
	v_subrev_nc_u32_e32 v134, 28, v133
	v_sub_nc_u32_e32 v133, 29, v133
	v_lshlrev_b32_e32 v132, v134, v132
	v_bfe_u32 v134, v20, 19, 4
	s_delay_alu instid0(VALU_DEP_1) | instskip(NEXT) | instid1(VALU_DEP_3)
	v_cmp_eq_u32_e32 vcc_lo, 0, v134
	v_dual_cndmask_b32 v133, v134, v133 :: v_dual_and_b32 v132, 7, v132
	s_delay_alu instid0(VALU_DEP_1) | instskip(NEXT) | instid1(VALU_DEP_2)
	v_dual_cndmask_b32 v99, v99, v132 :: v_dual_and_b32 v132, 0x80000000, v135
	v_lshl_add_u32 v133, v133, 23, 0x3b800000
	s_delay_alu instid0(VALU_DEP_2) | instskip(NEXT) | instid1(VALU_DEP_1)
	v_lshlrev_b32_e32 v99, 20, v99
	v_or3_b32 v99, v132, v133, v99
.LBB2_488:                              ;   in Loop: Header=BB2_370 Depth=2
	s_or_b32 exec_lo, exec_lo, s8
	v_lshrrev_b32_e32 v132, 16, v19
	s_mov_b32 s7, 0
	s_mov_b32 s18, exec_lo
                                        ; implicit-def: $sgpr8
	s_delay_alu instid0(VALU_DEP_1) | instskip(NEXT) | instid1(VALU_DEP_1)
	v_and_b32_e32 v134, 0xff, v132
	v_cmpx_lt_i16_e64 0x7f, v134
	s_xor_b32 s18, exec_lo, s18
	s_cbranch_execnz .LBB2_586
; %bb.489:                              ;   in Loop: Header=BB2_370 Depth=2
	s_or_saveexec_b32 s18, s18
	v_mov_b32_e32 v133, s8
	s_xor_b32 exec_lo, exec_lo, s18
	s_cbranch_execnz .LBB2_589
.LBB2_490:                              ;   in Loop: Header=BB2_370 Depth=2
	s_or_b32 exec_lo, exec_lo, s18
	s_and_saveexec_b32 s8, s7
	s_cbranch_execz .LBB2_492
.LBB2_491:                              ;   in Loop: Header=BB2_370 Depth=2
	v_bfe_u32 v133, v19, 16, 3
	v_lshlrev_b32_e32 v144, 8, v19
	s_delay_alu instid0(VALU_DEP_2) | instskip(NEXT) | instid1(VALU_DEP_1)
	v_clz_i32_u32_e32 v134, v133
	v_min_u32_e32 v134, 32, v134
	s_delay_alu instid0(VALU_DEP_1) | instskip(SKIP_1) | instid1(VALU_DEP_2)
	v_subrev_nc_u32_e32 v135, 28, v134
	v_sub_nc_u32_e32 v134, 29, v134
	v_lshlrev_b32_e32 v132, v135, v132
	v_bfe_u32 v135, v19, 19, 4
	s_delay_alu instid0(VALU_DEP_2) | instskip(NEXT) | instid1(VALU_DEP_2)
	v_and_b32_e32 v132, 7, v132
	v_cmp_eq_u32_e32 vcc_lo, 0, v135
	v_cndmask_b32_e32 v134, v135, v134, vcc_lo
	s_delay_alu instid0(VALU_DEP_3) | instskip(SKIP_1) | instid1(VALU_DEP_3)
	v_cndmask_b32_e32 v132, v133, v132, vcc_lo
	v_and_b32_e32 v133, 0x80000000, v144
	v_lshl_add_u32 v134, v134, 23, 0x3b800000
	s_delay_alu instid0(VALU_DEP_3) | instskip(NEXT) | instid1(VALU_DEP_1)
	v_lshlrev_b32_e32 v132, 20, v132
	v_or3_b32 v133, v133, v134, v132
.LBB2_492:                              ;   in Loop: Header=BB2_370 Depth=2
	s_or_b32 exec_lo, exec_lo, s8
	s_delay_alu instid0(VALU_DEP_1) | instskip(NEXT) | instid1(VALU_DEP_1)
	v_add_f32_e32 v132, v99, v133
	v_and_b32_e32 v99, 0x7f800000, v132
	s_delay_alu instid0(VALU_DEP_1)
	v_cmp_ne_u32_e32 vcc_lo, 0x7f800000, v99
	v_mov_b32_e32 v99, 0x80
	s_and_saveexec_b32 s8, vcc_lo
	s_cbranch_execz .LBB2_500
; %bb.493:                              ;   in Loop: Header=BB2_370 Depth=2
	v_mov_b32_e32 v99, 0
	s_mov_b32 s18, exec_lo
	v_cmpx_ne_u32_e32 0, v132
	s_cbranch_execz .LBB2_499
; %bb.494:                              ;   in Loop: Header=BB2_370 Depth=2
	v_bfe_u32 v99, v132, 23, 8
	s_delay_alu instid0(VALU_DEP_1) | instskip(SKIP_1) | instid1(VALU_DEP_2)
	v_sub_nc_u32_e32 v134, 0x78, v99
	v_cmp_gt_u32_e32 vcc_lo, 0x79, v99
	v_dual_cndmask_b32 v134, 0, v134 :: v_dual_and_b32 v133, 0x7fffff, v132
	s_delay_alu instid0(VALU_DEP_1) | instskip(SKIP_2) | instid1(VALU_DEP_4)
	v_or_b32_e32 v135, 0x800000, v133
	v_cmp_eq_u32_e32 vcc_lo, 0, v99
	v_add_nc_u32_e32 v99, 0xffffff89, v99
	v_cndmask_b32_e64 v134, v134, 0x77, vcc_lo
	s_delay_alu instid0(VALU_DEP_2) | instskip(SKIP_1) | instid1(VALU_DEP_3)
	v_cndmask_b32_e64 v99, v99, 0xffffff8a, vcc_lo
	v_cndmask_b32_e32 v133, v135, v133, vcc_lo
	v_lshl_add_u32 v135, 0x100000, v134, -1
	v_lshlrev_b32_e64 v146, v134, 0x80000
	s_delay_alu instid0(VALU_DEP_3) | instskip(SKIP_1) | instid1(VALU_DEP_4)
	v_lshrrev_b32_e32 v144, v134, v133
	v_add_nc_u32_e32 v134, v134, v99
	v_and_b32_e32 v133, v135, v133
	s_delay_alu instid0(VALU_DEP_3) | instskip(NEXT) | instid1(VALU_DEP_2)
	v_bfe_u32 v145, v144, 20, 1
	v_cmp_eq_u32_e64 s7, v133, v146
	s_delay_alu instid0(VALU_DEP_2) | instskip(NEXT) | instid1(VALU_DEP_1)
	v_add_nc_u32_e32 v135, -1, v145
	v_cndmask_b32_e64 v133, 0, v135, s7
	v_lshrrev_b32_e32 v135, 23, v144
	s_mov_b32 s7, exec_lo
	s_delay_alu instid0(VALU_DEP_2) | instskip(NEXT) | instid1(VALU_DEP_2)
	v_add_nc_u32_e32 v133, v133, v144
	v_xor_b32_e32 v135, 1, v135
	s_delay_alu instid0(VALU_DEP_2) | instskip(NEXT) | instid1(VALU_DEP_1)
	v_and_b32_e32 v99, 0xfffff, v133
	v_add_nc_u32_e32 v133, v99, v144
                                        ; implicit-def: $vgpr99
	s_delay_alu instid0(VALU_DEP_3)
	v_cmpx_ne_u32_e64 v134, v135
	s_xor_b32 s7, exec_lo, s7
; %bb.495:                              ;   in Loop: Header=BB2_370 Depth=2
	s_delay_alu instid0(VALU_DEP_2) | instskip(SKIP_2) | instid1(VALU_DEP_2)
	v_cmp_lt_u32_e32 vcc_lo, 0xffffff, v133
	v_sub_nc_u32_e32 v99, v134, v135
	v_cndmask_b32_e64 v134, 0, 1, vcc_lo
	v_add_co_ci_u32_e32 v99, vcc_lo, 0, v99, vcc_lo
	s_delay_alu instid0(VALU_DEP_2)
	v_lshrrev_b32_e32 v133, v134, v133
; %bb.496:                              ;   in Loop: Header=BB2_370 Depth=2
	s_and_not1_saveexec_b32 s7, s7
; %bb.497:                              ;   in Loop: Header=BB2_370 Depth=2
	s_delay_alu instid0(VALU_DEP_1)
	v_bfe_u32 v99, v133, 23, 1
; %bb.498:                              ;   in Loop: Header=BB2_370 Depth=2
	s_or_b32 exec_lo, exec_lo, s7
	v_lshrrev_b32_e32 v133, 20, v133
	s_delay_alu instid0(VALU_DEP_2) | instskip(SKIP_2) | instid1(VALU_DEP_2)
	v_cmp_gt_i32_e32 vcc_lo, 16, v99
	v_min_i32_e32 v134, 15, v99
	v_lshrrev_b32_e32 v132, 24, v132
	v_dual_cndmask_b32 v133, 7, v133 :: v_dual_lshlrev_b32 v134, 3, v134
	s_delay_alu instid0(VALU_DEP_2) | instskip(NEXT) | instid1(VALU_DEP_2)
	v_and_b32_e32 v132, 0x80, v132
	v_or_b32_e32 v99, v99, v133
	v_and_b32_e32 v135, 7, v133
	s_delay_alu instid0(VALU_DEP_2) | instskip(SKIP_1) | instid1(VALU_DEP_1)
	v_cmp_ne_u32_e32 vcc_lo, 0, v99
	v_and_b32_e32 v134, 0xf8, v134
	v_or3_b32 v132, v134, v132, v135
	s_delay_alu instid0(VALU_DEP_1)
	v_cndmask_b32_e32 v99, 0, v132, vcc_lo
.LBB2_499:                              ;   in Loop: Header=BB2_370 Depth=2
	s_or_b32 exec_lo, exec_lo, s18
.LBB2_500:                              ;   in Loop: Header=BB2_370 Depth=2
	s_delay_alu instid0(SALU_CYCLE_1) | instskip(SKIP_3) | instid1(VALU_DEP_1)
	s_or_b32 exec_lo, exec_lo, s8
	v_lshrrev_b32_e32 v133, 24, v20
	s_mov_b32 s7, 0
	s_mov_b32 s18, exec_lo
                                        ; implicit-def: $sgpr8
	v_cmpx_lt_i16_e64 0x7f, v133
	s_xor_b32 s18, exec_lo, s18
	s_cbranch_execnz .LBB2_590
; %bb.501:                              ;   in Loop: Header=BB2_370 Depth=2
	s_or_saveexec_b32 s18, s18
	v_mov_b32_e32 v132, s8
	s_xor_b32 exec_lo, exec_lo, s18
	s_cbranch_execnz .LBB2_593
.LBB2_502:                              ;   in Loop: Header=BB2_370 Depth=2
	s_or_b32 exec_lo, exec_lo, s18
	s_and_saveexec_b32 s8, s7
	s_cbranch_execz .LBB2_504
.LBB2_503:                              ;   in Loop: Header=BB2_370 Depth=2
	v_bfe_u32 v132, v20, 24, 3
	s_delay_alu instid0(VALU_DEP_1) | instskip(NEXT) | instid1(VALU_DEP_1)
	v_clz_i32_u32_e32 v134, v132
	v_min_u32_e32 v134, 32, v134
	s_delay_alu instid0(VALU_DEP_1) | instskip(SKIP_1) | instid1(VALU_DEP_2)
	v_subrev_nc_u32_e32 v135, 28, v134
	v_sub_nc_u32_e32 v134, 29, v134
	v_lshlrev_b32_e32 v133, v135, v133
	v_bfe_u32 v135, v20, 27, 4
	v_and_b32_e32 v20, 0x80000000, v20
	s_delay_alu instid0(VALU_DEP_2) | instskip(NEXT) | instid1(VALU_DEP_4)
	v_cmp_eq_u32_e32 vcc_lo, 0, v135
	v_dual_cndmask_b32 v134, v135, v134 :: v_dual_and_b32 v133, 7, v133
	s_delay_alu instid0(VALU_DEP_1) | instskip(NEXT) | instid1(VALU_DEP_2)
	v_cndmask_b32_e32 v132, v132, v133, vcc_lo
	v_lshl_add_u32 v133, v134, 23, 0x3b800000
	s_delay_alu instid0(VALU_DEP_2) | instskip(NEXT) | instid1(VALU_DEP_1)
	v_lshlrev_b32_e32 v132, 20, v132
	v_or3_b32 v132, v20, v133, v132
.LBB2_504:                              ;   in Loop: Header=BB2_370 Depth=2
	s_or_b32 exec_lo, exec_lo, s8
	v_lshrrev_b32_e32 v20, 24, v19
	s_mov_b32 s7, 0
	s_mov_b32 s18, exec_lo
                                        ; implicit-def: $sgpr8
	s_delay_alu instid0(VALU_DEP_1)
	v_cmpx_lt_i16_e32 0x7f, v20
	s_xor_b32 s18, exec_lo, s18
	s_cbranch_execnz .LBB2_594
; %bb.505:                              ;   in Loop: Header=BB2_370 Depth=2
	s_or_saveexec_b32 s18, s18
	v_mov_b32_e32 v133, s8
	s_xor_b32 exec_lo, exec_lo, s18
	s_cbranch_execnz .LBB2_597
.LBB2_506:                              ;   in Loop: Header=BB2_370 Depth=2
	s_or_b32 exec_lo, exec_lo, s18
	s_and_saveexec_b32 s8, s7
	s_cbranch_execz .LBB2_508
.LBB2_507:                              ;   in Loop: Header=BB2_370 Depth=2
	v_bfe_u32 v133, v19, 24, 3
	s_delay_alu instid0(VALU_DEP_1) | instskip(NEXT) | instid1(VALU_DEP_1)
	v_clz_i32_u32_e32 v134, v133
	v_min_u32_e32 v134, 32, v134
	s_delay_alu instid0(VALU_DEP_1) | instskip(SKIP_1) | instid1(VALU_DEP_2)
	v_subrev_nc_u32_e32 v135, 28, v134
	v_sub_nc_u32_e32 v134, 29, v134
	v_lshlrev_b32_e32 v20, v135, v20
	v_bfe_u32 v135, v19, 27, 4
	v_and_b32_e32 v19, 0x80000000, v19
	s_delay_alu instid0(VALU_DEP_3) | instskip(NEXT) | instid1(VALU_DEP_3)
	v_and_b32_e32 v20, 7, v20
	v_cmp_eq_u32_e32 vcc_lo, 0, v135
	v_cndmask_b32_e32 v134, v135, v134, vcc_lo
	s_delay_alu instid0(VALU_DEP_3) | instskip(NEXT) | instid1(VALU_DEP_2)
	v_cndmask_b32_e32 v20, v133, v20, vcc_lo
	v_lshl_add_u32 v133, v134, 23, 0x3b800000
	s_delay_alu instid0(VALU_DEP_2) | instskip(NEXT) | instid1(VALU_DEP_1)
	v_lshlrev_b32_e32 v20, 20, v20
	v_or3_b32 v133, v19, v133, v20
.LBB2_508:                              ;   in Loop: Header=BB2_370 Depth=2
	s_or_b32 exec_lo, exec_lo, s8
	s_delay_alu instid0(VALU_DEP_1) | instskip(SKIP_1) | instid1(VALU_DEP_1)
	v_dual_add_f32 v19, v132, v133 :: v_dual_mov_b32 v132, 0x8000
	s_mov_b32 s8, exec_lo
	v_and_b32_e32 v20, 0x7f800000, v19
	s_delay_alu instid0(VALU_DEP_1)
	v_cmpx_ne_u32_e32 0x7f800000, v20
	s_cbranch_execz .LBB2_516
; %bb.509:                              ;   in Loop: Header=BB2_370 Depth=2
	v_mov_b32_e32 v132, 0
	s_mov_b32 s18, exec_lo
	v_cmpx_ne_u32_e32 0, v19
	s_cbranch_execz .LBB2_515
; %bb.510:                              ;   in Loop: Header=BB2_370 Depth=2
	v_bfe_u32 v20, v19, 23, 8
	s_delay_alu instid0(VALU_DEP_1) | instskip(SKIP_1) | instid1(VALU_DEP_2)
	v_sub_nc_u32_e32 v133, 0x78, v20
	v_cmp_gt_u32_e32 vcc_lo, 0x79, v20
	v_dual_cndmask_b32 v133, 0, v133 :: v_dual_and_b32 v132, 0x7fffff, v19
	s_delay_alu instid0(VALU_DEP_1) | instskip(SKIP_2) | instid1(VALU_DEP_4)
	v_or_b32_e32 v134, 0x800000, v132
	v_cmp_eq_u32_e32 vcc_lo, 0, v20
	v_add_nc_u32_e32 v20, 0xffffff89, v20
	v_cndmask_b32_e64 v133, v133, 0x77, vcc_lo
	s_delay_alu instid0(VALU_DEP_4) | instskip(NEXT) | instid1(VALU_DEP_3)
	v_cndmask_b32_e32 v132, v134, v132, vcc_lo
	v_cndmask_b32_e64 v20, v20, 0xffffff8a, vcc_lo
	s_delay_alu instid0(VALU_DEP_3) | instskip(NEXT) | instid1(VALU_DEP_3)
	v_lshl_add_u32 v134, 0x100000, v133, -1
	v_lshrrev_b32_e32 v135, v133, v132
	v_lshlrev_b32_e64 v145, v133, 0x80000
	s_delay_alu instid0(VALU_DEP_4) | instskip(NEXT) | instid1(VALU_DEP_4)
	v_add_nc_u32_e32 v133, v133, v20
	v_and_b32_e32 v132, v134, v132
	s_delay_alu instid0(VALU_DEP_4) | instskip(NEXT) | instid1(VALU_DEP_2)
	v_bfe_u32 v144, v135, 20, 1
	v_cmp_eq_u32_e64 s7, v132, v145
	s_delay_alu instid0(VALU_DEP_2) | instskip(NEXT) | instid1(VALU_DEP_1)
	v_add_nc_u32_e32 v134, -1, v144
	v_cndmask_b32_e64 v132, 0, v134, s7
	v_lshrrev_b32_e32 v134, 23, v135
	s_mov_b32 s7, exec_lo
	s_delay_alu instid0(VALU_DEP_2) | instskip(NEXT) | instid1(VALU_DEP_2)
	v_add_nc_u32_e32 v132, v132, v135
	v_xor_b32_e32 v134, 1, v134
	s_delay_alu instid0(VALU_DEP_2) | instskip(NEXT) | instid1(VALU_DEP_1)
	v_and_b32_e32 v20, 0xfffff, v132
	v_add_nc_u32_e32 v132, v20, v135
                                        ; implicit-def: $vgpr20
	s_delay_alu instid0(VALU_DEP_3)
	v_cmpx_ne_u32_e64 v133, v134
	s_xor_b32 s7, exec_lo, s7
; %bb.511:                              ;   in Loop: Header=BB2_370 Depth=2
	s_delay_alu instid0(VALU_DEP_2) | instskip(SKIP_2) | instid1(VALU_DEP_2)
	v_cmp_lt_u32_e32 vcc_lo, 0xffffff, v132
	v_sub_nc_u32_e32 v20, v133, v134
	v_cndmask_b32_e64 v133, 0, 1, vcc_lo
	v_add_co_ci_u32_e32 v20, vcc_lo, 0, v20, vcc_lo
	s_delay_alu instid0(VALU_DEP_2)
	v_lshrrev_b32_e32 v132, v133, v132
; %bb.512:                              ;   in Loop: Header=BB2_370 Depth=2
	s_and_not1_saveexec_b32 s7, s7
; %bb.513:                              ;   in Loop: Header=BB2_370 Depth=2
	s_delay_alu instid0(VALU_DEP_1)
	v_bfe_u32 v20, v132, 23, 1
; %bb.514:                              ;   in Loop: Header=BB2_370 Depth=2
	s_or_b32 exec_lo, exec_lo, s7
	v_lshrrev_b32_e32 v132, 20, v132
	s_delay_alu instid0(VALU_DEP_2) | instskip(SKIP_2) | instid1(VALU_DEP_2)
	v_cmp_gt_i32_e32 vcc_lo, 16, v20
	v_min_i32_e32 v133, 15, v20
	v_lshrrev_b32_e32 v19, 24, v19
	v_dual_cndmask_b32 v132, 7, v132 :: v_dual_lshlrev_b32 v133, 3, v133
	s_delay_alu instid0(VALU_DEP_2) | instskip(NEXT) | instid1(VALU_DEP_2)
	v_and_b32_e32 v19, 0x80, v19
	v_or_b32_e32 v20, v20, v132
	v_and_b32_e32 v134, 7, v132
	s_delay_alu instid0(VALU_DEP_2) | instskip(SKIP_1) | instid1(VALU_DEP_1)
	v_cmp_ne_u32_e32 vcc_lo, 0, v20
	v_and_b32_e32 v133, 0xf8, v133
	v_or3_b32 v19, v19, v133, v134
	s_delay_alu instid0(VALU_DEP_1) | instskip(NEXT) | instid1(VALU_DEP_1)
	v_lshlrev_b32_e32 v19, 8, v19
	v_cndmask_b32_e32 v132, 0, v19, vcc_lo
.LBB2_515:                              ;   in Loop: Header=BB2_370 Depth=2
	s_or_b32 exec_lo, exec_lo, s18
.LBB2_516:                              ;   in Loop: Header=BB2_370 Depth=2
	s_delay_alu instid0(SALU_CYCLE_1)
	s_or_b32 exec_lo, exec_lo, s8
	v_cmp_lt_u32_e32 vcc_lo, 7, v131
	v_and_or_b32 v20, 0xff, v97, v98
	v_or_b32_e32 v97, v132, v99
	v_cndmask_b32_e64 v19, 0, 1, vcc_lo
	;;#ASMSTART
	;;#ASMEND
	s_delay_alu instid0(VALU_DEP_1) | instskip(NEXT) | instid1(VALU_DEP_3)
	v_cmp_ne_u32_e64 s7, 0, v19
	v_lshl_or_b32 v19, v97, 16, v20
	s_delay_alu instid0(VALU_DEP_2)
	s_cmp_lg_u32 s7, exec_lo
	s_mov_b32 s7, -1
	s_cbranch_scc0 .LBB2_532
; %bb.517:                              ;   in Loop: Header=BB2_370 Depth=2
	s_mov_b32 s8, exec_lo
	flat_store_b8 v[80:81], v21
	v_cmpx_ne_u32_e32 1, v131
	s_cbranch_execz .LBB2_519
; %bb.518:                              ;   in Loop: Header=BB2_370 Depth=2
	flat_store_b8 v[80:81], v83 offset:1
.LBB2_519:                              ;   in Loop: Header=BB2_370 Depth=2
	s_or_b32 exec_lo, exec_lo, s8
	s_delay_alu instid0(SALU_CYCLE_1)
	s_mov_b32 s8, exec_lo
	v_cmpx_lt_u32_e32 2, v131
	s_cbranch_execz .LBB2_521
; %bb.520:                              ;   in Loop: Header=BB2_370 Depth=2
	flat_store_b8 v[80:81], v84 offset:2
.LBB2_521:                              ;   in Loop: Header=BB2_370 Depth=2
	s_or_b32 exec_lo, exec_lo, s8
	s_delay_alu instid0(SALU_CYCLE_1)
	s_mov_b32 s8, exec_lo
	v_cmpx_lt_u32_e32 3, v131
	;; [unrolled: 8-line block ×4, first 2 shown]
	s_cbranch_execz .LBB2_527
; %bb.526:                              ;   in Loop: Header=BB2_370 Depth=2
	v_lshrrev_b32_e32 v20, 8, v98
	flat_store_b8 v[80:81], v20 offset:5
.LBB2_527:                              ;   in Loop: Header=BB2_370 Depth=2
	s_or_b32 exec_lo, exec_lo, s8
	s_delay_alu instid0(SALU_CYCLE_1)
	s_mov_b32 s8, exec_lo
	v_cmpx_lt_u32_e32 6, v131
	s_cbranch_execz .LBB2_529
; %bb.528:                              ;   in Loop: Header=BB2_370 Depth=2
	flat_store_d16_hi_b8 v[80:81], v19 offset:6
.LBB2_529:                              ;   in Loop: Header=BB2_370 Depth=2
	s_or_b32 exec_lo, exec_lo, s8
	s_and_saveexec_b32 s7, vcc_lo
	s_cbranch_execz .LBB2_531
; %bb.530:                              ;   in Loop: Header=BB2_370 Depth=2
	v_lshrrev_b32_e32 v20, 24, v19
	flat_store_b8 v[80:81], v20 offset:7
.LBB2_531:                              ;   in Loop: Header=BB2_370 Depth=2
	s_or_b32 exec_lo, exec_lo, s7
	s_mov_b32 s7, 0
.LBB2_532:                              ;   in Loop: Header=BB2_370 Depth=2
	s_delay_alu instid0(SALU_CYCLE_1)
	s_and_b32 vcc_lo, exec_lo, s7
	s_cbranch_vccz .LBB2_369
; %bb.533:                              ;   in Loop: Header=BB2_370 Depth=2
	v_perm_b32 v18, v18, v84, 0x6050400
	v_lshlrev_b32_e32 v20, 8, v83
	s_delay_alu instid0(VALU_DEP_2) | instskip(NEXT) | instid1(VALU_DEP_1)
	v_perm_b32 v18, v18, v21, 0x5040c00
	v_and_or_b32 v18, 0xff00, v20, v18
	global_store_b64 v[80:81], v[18:19], off
	s_branch .LBB2_369
.LBB2_534:                              ;   in Loop: Header=BB2_370 Depth=2
	s_mov_b32 s7, -1
	s_mov_b32 s19, exec_lo
                                        ; implicit-def: $sgpr8
	v_cmpx_eq_u16_e32 0x80, v19
; %bb.535:                              ;   in Loop: Header=BB2_370 Depth=2
	s_mov_b32 s8, 0x7f800001
	s_xor_b32 s7, exec_lo, -1
; %bb.536:                              ;   in Loop: Header=BB2_370 Depth=2
	s_or_b32 exec_lo, exec_lo, s19
	s_delay_alu instid0(SALU_CYCLE_1)
	s_and_b32 s7, s7, exec_lo
                                        ; implicit-def: $vgpr19
	s_or_saveexec_b32 s18, s18
	v_mov_b32_e32 v21, s8
	s_xor_b32 exec_lo, exec_lo, s18
	s_cbranch_execz .LBB2_390
.LBB2_537:                              ;   in Loop: Header=BB2_370 Depth=2
	v_cmp_ne_u16_e32 vcc_lo, 0, v19
	v_mov_b32_e32 v21, 0
	s_and_not1_b32 s7, s7, exec_lo
	s_and_b32 s8, vcc_lo, exec_lo
	s_delay_alu instid0(SALU_CYCLE_1)
	s_or_b32 s7, s7, s8
	s_or_b32 exec_lo, exec_lo, s18
	s_and_saveexec_b32 s8, s7
	s_cbranch_execnz .LBB2_391
	s_branch .LBB2_392
.LBB2_538:                              ;   in Loop: Header=BB2_370 Depth=2
	s_mov_b32 s7, -1
	s_mov_b32 s19, exec_lo
                                        ; implicit-def: $sgpr8
	v_cmpx_eq_u16_e32 0x80, v84
; %bb.539:                              ;   in Loop: Header=BB2_370 Depth=2
	s_mov_b32 s8, 0x7f800001
	s_xor_b32 s7, exec_lo, -1
; %bb.540:                              ;   in Loop: Header=BB2_370 Depth=2
	s_or_b32 exec_lo, exec_lo, s19
	s_delay_alu instid0(SALU_CYCLE_1)
	s_and_b32 s7, s7, exec_lo
                                        ; implicit-def: $vgpr84
	s_or_saveexec_b32 s18, s18
	v_mov_b32_e32 v83, s8
	s_xor_b32 exec_lo, exec_lo, s18
	s_cbranch_execz .LBB2_394
.LBB2_541:                              ;   in Loop: Header=BB2_370 Depth=2
	v_cmp_ne_u16_e32 vcc_lo, 0, v84
	v_mov_b32_e32 v83, 0
	s_and_not1_b32 s7, s7, exec_lo
	s_and_b32 s8, vcc_lo, exec_lo
	s_delay_alu instid0(SALU_CYCLE_1)
	s_or_b32 s7, s7, s8
	s_or_b32 exec_lo, exec_lo, s18
	s_and_saveexec_b32 s8, s7
	s_cbranch_execnz .LBB2_395
	s_branch .LBB2_396
.LBB2_542:                              ;   in Loop: Header=BB2_370 Depth=2
	s_mov_b32 s7, -1
	s_mov_b32 s19, exec_lo
                                        ; implicit-def: $sgpr8
	v_cmpx_eq_u16_e32 0x80, v84
; %bb.543:                              ;   in Loop: Header=BB2_370 Depth=2
	s_mov_b32 s8, 0x7f800001
	s_xor_b32 s7, exec_lo, -1
; %bb.544:                              ;   in Loop: Header=BB2_370 Depth=2
	s_or_b32 exec_lo, exec_lo, s19
	s_delay_alu instid0(SALU_CYCLE_1)
	s_and_b32 s7, s7, exec_lo
	s_or_saveexec_b32 s18, s18
	v_mov_b32_e32 v83, s8
	s_xor_b32 exec_lo, exec_lo, s18
	s_cbranch_execz .LBB2_406
.LBB2_545:                              ;   in Loop: Header=BB2_370 Depth=2
	v_cmp_ne_u16_e32 vcc_lo, 0, v84
	v_mov_b32_e32 v83, 0
	s_and_not1_b32 s7, s7, exec_lo
	s_and_b32 s8, vcc_lo, exec_lo
	s_delay_alu instid0(SALU_CYCLE_1)
	s_or_b32 s7, s7, s8
	s_or_b32 exec_lo, exec_lo, s18
	s_and_saveexec_b32 s8, s7
	s_cbranch_execnz .LBB2_407
	s_branch .LBB2_408
.LBB2_546:                              ;   in Loop: Header=BB2_370 Depth=2
	s_mov_b32 s7, -1
	s_mov_b32 s19, exec_lo
                                        ; implicit-def: $sgpr8
	v_cmpx_eq_u16_e32 0x80, v84
; %bb.547:                              ;   in Loop: Header=BB2_370 Depth=2
	s_mov_b32 s8, 0x7f800001
	s_xor_b32 s7, exec_lo, -1
; %bb.548:                              ;   in Loop: Header=BB2_370 Depth=2
	s_or_b32 exec_lo, exec_lo, s19
	s_delay_alu instid0(SALU_CYCLE_1)
	s_and_b32 s7, s7, exec_lo
	s_or_saveexec_b32 s18, s18
	v_mov_b32_e32 v132, s8
	s_xor_b32 exec_lo, exec_lo, s18
	s_cbranch_execz .LBB2_410
.LBB2_549:                              ;   in Loop: Header=BB2_370 Depth=2
	v_cmp_ne_u16_e32 vcc_lo, 0, v84
	v_mov_b32_e32 v132, 0
	s_and_not1_b32 s7, s7, exec_lo
	s_and_b32 s8, vcc_lo, exec_lo
	s_delay_alu instid0(SALU_CYCLE_1)
	s_or_b32 s7, s7, s8
	s_or_b32 exec_lo, exec_lo, s18
	s_and_saveexec_b32 s8, s7
	s_cbranch_execnz .LBB2_411
	s_branch .LBB2_412
.LBB2_550:                              ;   in Loop: Header=BB2_370 Depth=2
	s_mov_b32 s7, -1
	s_mov_b32 s19, exec_lo
                                        ; implicit-def: $sgpr8
	v_cmpx_eq_u16_e64 0x80, v133
; %bb.551:                              ;   in Loop: Header=BB2_370 Depth=2
	s_mov_b32 s8, 0x7f800001
	s_xor_b32 s7, exec_lo, -1
; %bb.552:                              ;   in Loop: Header=BB2_370 Depth=2
	s_or_b32 exec_lo, exec_lo, s19
	s_delay_alu instid0(SALU_CYCLE_1)
	s_and_b32 s7, s7, exec_lo
                                        ; implicit-def: $vgpr133
	s_or_saveexec_b32 s18, s18
	v_mov_b32_e32 v84, s8
	s_xor_b32 exec_lo, exec_lo, s18
	s_cbranch_execz .LBB2_422
.LBB2_553:                              ;   in Loop: Header=BB2_370 Depth=2
	v_cmp_ne_u16_e64 vcc_lo, 0, v133
	v_mov_b32_e32 v84, 0
	s_and_not1_b32 s7, s7, exec_lo
	s_delay_alu instid0(VALU_DEP_2) | instskip(NEXT) | instid1(SALU_CYCLE_1)
	s_and_b32 s8, vcc_lo, exec_lo
	s_or_b32 s7, s7, s8
	s_or_b32 exec_lo, exec_lo, s18
	s_and_saveexec_b32 s8, s7
	s_cbranch_execnz .LBB2_423
	s_branch .LBB2_424
.LBB2_554:                              ;   in Loop: Header=BB2_370 Depth=2
	s_mov_b32 s7, -1
	s_mov_b32 s19, exec_lo
                                        ; implicit-def: $sgpr8
	v_cmpx_eq_u16_e64 0x80, v134
; %bb.555:                              ;   in Loop: Header=BB2_370 Depth=2
	s_mov_b32 s8, 0x7f800001
	s_xor_b32 s7, exec_lo, -1
; %bb.556:                              ;   in Loop: Header=BB2_370 Depth=2
	s_or_b32 exec_lo, exec_lo, s19
	s_delay_alu instid0(SALU_CYCLE_1)
	s_and_b32 s7, s7, exec_lo
                                        ; implicit-def: $vgpr134
	s_or_saveexec_b32 s18, s18
	v_mov_b32_e32 v133, s8
	s_xor_b32 exec_lo, exec_lo, s18
	s_cbranch_execz .LBB2_426
.LBB2_557:                              ;   in Loop: Header=BB2_370 Depth=2
	v_cmp_ne_u16_e64 vcc_lo, 0, v134
	v_mov_b32_e32 v133, 0
	s_and_not1_b32 s7, s7, exec_lo
	s_delay_alu instid0(VALU_DEP_2) | instskip(NEXT) | instid1(SALU_CYCLE_1)
	s_and_b32 s8, vcc_lo, exec_lo
	s_or_b32 s7, s7, s8
	s_or_b32 exec_lo, exec_lo, s18
	s_and_saveexec_b32 s8, s7
	s_cbranch_execnz .LBB2_427
	s_branch .LBB2_428
.LBB2_558:                              ;   in Loop: Header=BB2_370 Depth=2
	s_mov_b32 s7, -1
	s_mov_b32 s19, exec_lo
                                        ; implicit-def: $sgpr8
	v_cmpx_eq_u16_e64 0x80, v133
; %bb.559:                              ;   in Loop: Header=BB2_370 Depth=2
	s_mov_b32 s8, 0x7f800001
	s_xor_b32 s7, exec_lo, -1
; %bb.560:                              ;   in Loop: Header=BB2_370 Depth=2
	s_or_b32 exec_lo, exec_lo, s19
	s_delay_alu instid0(SALU_CYCLE_1)
	s_and_b32 s7, s7, exec_lo
	s_or_saveexec_b32 s18, s18
	v_mov_b32_e32 v132, s8
	s_xor_b32 exec_lo, exec_lo, s18
	s_cbranch_execz .LBB2_438
.LBB2_561:                              ;   in Loop: Header=BB2_370 Depth=2
	v_cmp_ne_u16_e64 vcc_lo, 0, v133
	v_mov_b32_e32 v132, 0
	s_and_not1_b32 s7, s7, exec_lo
	s_delay_alu instid0(VALU_DEP_2) | instskip(NEXT) | instid1(SALU_CYCLE_1)
	s_and_b32 s8, vcc_lo, exec_lo
	s_or_b32 s7, s7, s8
	s_or_b32 exec_lo, exec_lo, s18
	s_and_saveexec_b32 s8, s7
	s_cbranch_execnz .LBB2_439
	s_branch .LBB2_440
.LBB2_562:                              ;   in Loop: Header=BB2_370 Depth=2
	s_mov_b32 s7, -1
	s_mov_b32 s19, exec_lo
                                        ; implicit-def: $sgpr8
	v_cmpx_eq_u16_e32 0x80, v18
; %bb.563:                              ;   in Loop: Header=BB2_370 Depth=2
	s_mov_b32 s8, 0x7f800001
	s_xor_b32 s7, exec_lo, -1
; %bb.564:                              ;   in Loop: Header=BB2_370 Depth=2
	s_or_b32 exec_lo, exec_lo, s19
	s_delay_alu instid0(SALU_CYCLE_1)
	s_and_b32 s7, s7, exec_lo
	s_or_saveexec_b32 s18, s18
	v_mov_b32_e32 v133, s8
	s_xor_b32 exec_lo, exec_lo, s18
	s_cbranch_execz .LBB2_442
.LBB2_565:                              ;   in Loop: Header=BB2_370 Depth=2
	v_cmp_ne_u16_e32 vcc_lo, 0, v18
	v_mov_b32_e32 v133, 0
	s_and_not1_b32 s7, s7, exec_lo
	s_and_b32 s8, vcc_lo, exec_lo
	s_delay_alu instid0(SALU_CYCLE_1)
	s_or_b32 s7, s7, s8
	s_or_b32 exec_lo, exec_lo, s18
	s_and_saveexec_b32 s8, s7
	s_cbranch_execnz .LBB2_443
	s_branch .LBB2_444
.LBB2_566:                              ;   in Loop: Header=BB2_370 Depth=2
	s_mov_b32 s7, -1
	s_mov_b32 s19, exec_lo
                                        ; implicit-def: $sgpr8
	v_cmpx_eq_u16_e32 0x80, v99
; %bb.567:                              ;   in Loop: Header=BB2_370 Depth=2
	s_mov_b32 s8, 0x7f800001
	s_xor_b32 s7, exec_lo, -1
; %bb.568:                              ;   in Loop: Header=BB2_370 Depth=2
	s_or_b32 exec_lo, exec_lo, s19
	s_delay_alu instid0(SALU_CYCLE_1)
	s_and_b32 s7, s7, exec_lo
                                        ; implicit-def: $vgpr99
	s_or_saveexec_b32 s18, s18
	v_mov_b32_e32 v132, s8
	s_xor_b32 exec_lo, exec_lo, s18
	s_cbranch_execz .LBB2_454
.LBB2_569:                              ;   in Loop: Header=BB2_370 Depth=2
	v_cmp_ne_u16_e32 vcc_lo, 0, v99
	v_mov_b32_e32 v132, 0
	s_and_not1_b32 s7, s7, exec_lo
	s_and_b32 s8, vcc_lo, exec_lo
	s_delay_alu instid0(SALU_CYCLE_1)
	s_or_b32 s7, s7, s8
	s_or_b32 exec_lo, exec_lo, s18
	s_and_saveexec_b32 s8, s7
	s_cbranch_execnz .LBB2_455
	s_branch .LBB2_456
.LBB2_570:                              ;   in Loop: Header=BB2_370 Depth=2
	s_mov_b32 s7, -1
	s_mov_b32 s19, exec_lo
                                        ; implicit-def: $sgpr8
	v_cmpx_eq_u16_e32 0x80, v98
; %bb.571:                              ;   in Loop: Header=BB2_370 Depth=2
	s_mov_b32 s8, 0x7f800001
	s_xor_b32 s7, exec_lo, -1
; %bb.572:                              ;   in Loop: Header=BB2_370 Depth=2
	s_or_b32 exec_lo, exec_lo, s19
	s_delay_alu instid0(SALU_CYCLE_1)
	s_and_b32 s7, s7, exec_lo
                                        ; implicit-def: $vgpr98
	s_or_saveexec_b32 s18, s18
	v_mov_b32_e32 v97, s8
	s_xor_b32 exec_lo, exec_lo, s18
	s_cbranch_execz .LBB2_458
.LBB2_573:                              ;   in Loop: Header=BB2_370 Depth=2
	v_cmp_ne_u16_e32 vcc_lo, 0, v98
	v_mov_b32_e32 v97, 0
	s_and_not1_b32 s7, s7, exec_lo
	s_and_b32 s8, vcc_lo, exec_lo
	s_delay_alu instid0(SALU_CYCLE_1)
	s_or_b32 s7, s7, s8
	s_or_b32 exec_lo, exec_lo, s18
	s_and_saveexec_b32 s8, s7
	s_cbranch_execnz .LBB2_459
	s_branch .LBB2_460
.LBB2_574:                              ;   in Loop: Header=BB2_370 Depth=2
	s_mov_b32 s7, -1
	s_mov_b32 s19, exec_lo
                                        ; implicit-def: $sgpr8
	v_cmpx_eq_u16_e32 0x80, v99
; %bb.575:                              ;   in Loop: Header=BB2_370 Depth=2
	s_mov_b32 s8, 0x7f800001
	s_xor_b32 s7, exec_lo, -1
; %bb.576:                              ;   in Loop: Header=BB2_370 Depth=2
	s_or_b32 exec_lo, exec_lo, s19
	s_delay_alu instid0(SALU_CYCLE_1)
	s_and_b32 s7, s7, exec_lo
	s_or_saveexec_b32 s18, s18
	v_mov_b32_e32 v98, s8
	s_xor_b32 exec_lo, exec_lo, s18
	s_cbranch_execz .LBB2_470
.LBB2_577:                              ;   in Loop: Header=BB2_370 Depth=2
	v_cmp_ne_u16_e32 vcc_lo, 0, v99
	v_mov_b32_e32 v98, 0
	s_and_not1_b32 s7, s7, exec_lo
	s_and_b32 s8, vcc_lo, exec_lo
	s_delay_alu instid0(SALU_CYCLE_1)
	s_or_b32 s7, s7, s8
	s_or_b32 exec_lo, exec_lo, s18
	s_and_saveexec_b32 s8, s7
	s_cbranch_execnz .LBB2_471
	s_branch .LBB2_472
.LBB2_578:                              ;   in Loop: Header=BB2_370 Depth=2
	s_mov_b32 s7, -1
	s_mov_b32 s19, exec_lo
                                        ; implicit-def: $sgpr8
	v_cmpx_eq_u16_e32 0x80, v99
; %bb.579:                              ;   in Loop: Header=BB2_370 Depth=2
	s_mov_b32 s8, 0x7f800001
	s_xor_b32 s7, exec_lo, -1
; %bb.580:                              ;   in Loop: Header=BB2_370 Depth=2
	s_or_b32 exec_lo, exec_lo, s19
	s_delay_alu instid0(SALU_CYCLE_1)
	s_and_b32 s7, s7, exec_lo
	s_or_saveexec_b32 s18, s18
	v_mov_b32_e32 v132, s8
	s_xor_b32 exec_lo, exec_lo, s18
	s_cbranch_execz .LBB2_474
.LBB2_581:                              ;   in Loop: Header=BB2_370 Depth=2
	v_cmp_ne_u16_e32 vcc_lo, 0, v99
	v_mov_b32_e32 v132, 0
	s_and_not1_b32 s7, s7, exec_lo
	s_and_b32 s8, vcc_lo, exec_lo
	s_delay_alu instid0(SALU_CYCLE_1)
	s_or_b32 s7, s7, s8
	s_or_b32 exec_lo, exec_lo, s18
	s_and_saveexec_b32 s8, s7
	s_cbranch_execnz .LBB2_475
	s_branch .LBB2_476
.LBB2_582:                              ;   in Loop: Header=BB2_370 Depth=2
	s_mov_b32 s7, -1
	s_mov_b32 s19, exec_lo
                                        ; implicit-def: $sgpr8
	v_cmpx_eq_u16_e64 0x80, v133
; %bb.583:                              ;   in Loop: Header=BB2_370 Depth=2
	s_mov_b32 s8, 0x7f800001
	s_xor_b32 s7, exec_lo, -1
; %bb.584:                              ;   in Loop: Header=BB2_370 Depth=2
	s_or_b32 exec_lo, exec_lo, s19
	s_delay_alu instid0(SALU_CYCLE_1)
	s_and_b32 s7, s7, exec_lo
                                        ; implicit-def: $vgpr133
	s_or_saveexec_b32 s18, s18
	v_mov_b32_e32 v99, s8
	s_xor_b32 exec_lo, exec_lo, s18
	s_cbranch_execz .LBB2_486
.LBB2_585:                              ;   in Loop: Header=BB2_370 Depth=2
	v_cmp_ne_u16_e64 vcc_lo, 0, v133
	v_mov_b32_e32 v99, 0
	s_and_not1_b32 s7, s7, exec_lo
	s_delay_alu instid0(VALU_DEP_2) | instskip(NEXT) | instid1(SALU_CYCLE_1)
	s_and_b32 s8, vcc_lo, exec_lo
	s_or_b32 s7, s7, s8
	s_or_b32 exec_lo, exec_lo, s18
	s_and_saveexec_b32 s8, s7
	s_cbranch_execnz .LBB2_487
	s_branch .LBB2_488
.LBB2_586:                              ;   in Loop: Header=BB2_370 Depth=2
	s_mov_b32 s7, -1
	s_mov_b32 s19, exec_lo
                                        ; implicit-def: $sgpr8
	v_cmpx_eq_u16_e64 0x80, v134
; %bb.587:                              ;   in Loop: Header=BB2_370 Depth=2
	s_mov_b32 s8, 0x7f800001
	s_xor_b32 s7, exec_lo, -1
; %bb.588:                              ;   in Loop: Header=BB2_370 Depth=2
	s_or_b32 exec_lo, exec_lo, s19
	s_delay_alu instid0(SALU_CYCLE_1)
	s_and_b32 s7, s7, exec_lo
                                        ; implicit-def: $vgpr134
	s_or_saveexec_b32 s18, s18
	v_mov_b32_e32 v133, s8
	s_xor_b32 exec_lo, exec_lo, s18
	s_cbranch_execz .LBB2_490
.LBB2_589:                              ;   in Loop: Header=BB2_370 Depth=2
	v_cmp_ne_u16_e64 vcc_lo, 0, v134
	v_mov_b32_e32 v133, 0
	s_and_not1_b32 s7, s7, exec_lo
	s_delay_alu instid0(VALU_DEP_2) | instskip(NEXT) | instid1(SALU_CYCLE_1)
	s_and_b32 s8, vcc_lo, exec_lo
	s_or_b32 s7, s7, s8
	s_or_b32 exec_lo, exec_lo, s18
	s_and_saveexec_b32 s8, s7
	s_cbranch_execnz .LBB2_491
	s_branch .LBB2_492
.LBB2_590:                              ;   in Loop: Header=BB2_370 Depth=2
	s_mov_b32 s7, -1
	s_mov_b32 s19, exec_lo
                                        ; implicit-def: $sgpr8
	v_cmpx_eq_u16_e64 0x80, v133
; %bb.591:                              ;   in Loop: Header=BB2_370 Depth=2
	s_mov_b32 s8, 0x7f800001
	s_xor_b32 s7, exec_lo, -1
; %bb.592:                              ;   in Loop: Header=BB2_370 Depth=2
	s_or_b32 exec_lo, exec_lo, s19
	s_delay_alu instid0(SALU_CYCLE_1)
	s_and_b32 s7, s7, exec_lo
	s_or_saveexec_b32 s18, s18
	v_mov_b32_e32 v132, s8
	s_xor_b32 exec_lo, exec_lo, s18
	s_cbranch_execz .LBB2_502
.LBB2_593:                              ;   in Loop: Header=BB2_370 Depth=2
	v_cmp_ne_u16_e64 vcc_lo, 0, v133
	v_mov_b32_e32 v132, 0
	s_and_not1_b32 s7, s7, exec_lo
	s_delay_alu instid0(VALU_DEP_2) | instskip(NEXT) | instid1(SALU_CYCLE_1)
	s_and_b32 s8, vcc_lo, exec_lo
	s_or_b32 s7, s7, s8
	s_or_b32 exec_lo, exec_lo, s18
	s_and_saveexec_b32 s8, s7
	s_cbranch_execnz .LBB2_503
	s_branch .LBB2_504
.LBB2_594:                              ;   in Loop: Header=BB2_370 Depth=2
	s_mov_b32 s7, -1
	s_mov_b32 s19, exec_lo
                                        ; implicit-def: $sgpr8
	v_cmpx_eq_u16_e32 0x80, v20
; %bb.595:                              ;   in Loop: Header=BB2_370 Depth=2
	s_mov_b32 s8, 0x7f800001
	s_xor_b32 s7, exec_lo, -1
; %bb.596:                              ;   in Loop: Header=BB2_370 Depth=2
	s_or_b32 exec_lo, exec_lo, s19
	s_delay_alu instid0(SALU_CYCLE_1)
	s_and_b32 s7, s7, exec_lo
	s_or_saveexec_b32 s18, s18
	v_mov_b32_e32 v133, s8
	s_xor_b32 exec_lo, exec_lo, s18
	s_cbranch_execz .LBB2_506
.LBB2_597:                              ;   in Loop: Header=BB2_370 Depth=2
	v_cmp_ne_u16_e32 vcc_lo, 0, v20
	v_mov_b32_e32 v133, 0
	s_and_not1_b32 s7, s7, exec_lo
	s_and_b32 s8, vcc_lo, exec_lo
	s_delay_alu instid0(SALU_CYCLE_1)
	s_or_b32 s7, s7, s8
	s_or_b32 exec_lo, exec_lo, s18
	s_and_saveexec_b32 s8, s7
	s_cbranch_execnz .LBB2_507
	s_branch .LBB2_508
.LBB2_598:                              ;   in Loop: Header=BB2_32 Depth=1
	s_or_b32 exec_lo, exec_lo, s17
.LBB2_599:                              ;   in Loop: Header=BB2_32 Depth=1
	s_delay_alu instid0(SALU_CYCLE_1)
	s_or_b32 exec_lo, exec_lo, s9
	s_and_saveexec_b32 s7, s3
	s_cbranch_execz .LBB2_621
; %bb.600:                              ;   in Loop: Header=BB2_32 Depth=1
	s_and_saveexec_b32 s8, s4
	s_delay_alu instid0(SALU_CYCLE_1)
	s_xor_b32 s8, exec_lo, s8
	s_cbranch_execz .LBB2_618
; %bb.601:                              ;   in Loop: Header=BB2_32 Depth=1
	s_and_saveexec_b32 s9, s5
	s_cbranch_execz .LBB2_617
; %bb.602:                              ;   in Loop: Header=BB2_32 Depth=1
	s_mov_b32 s18, exec_lo
	s_mov_b32 s17, exec_lo
	v_mbcnt_lo_u32_b32 v18, s18, 0
	s_waitcnt vmcnt(0) lgkmcnt(0)
	s_waitcnt_vscnt null, 0x0
	buffer_gl1_inv
	buffer_gl0_inv
	v_cmpx_eq_u32_e32 0, v18
	s_cbranch_execz .LBB2_604
; %bb.603:                              ;   in Loop: Header=BB2_32 Depth=1
	s_bcnt1_i32_b32 s18, s18
	s_delay_alu instid0(SALU_CYCLE_1)
	v_mov_b32_e32 v64, s18
	ds_add_u64 v0, v[64:65]
	s_cbranch_execnz .LBB2_690
.LBB2_604:                              ;   in Loop: Header=BB2_32 Depth=1
	s_or_b32 exec_lo, exec_lo, s17
	s_cbranch_execnz .LBB2_678
; %bb.605:                              ;   in Loop: Header=BB2_32 Depth=1
	ds_load_b64 v[18:19], v0
	v_add_co_u32 v2, vcc_lo, v2, v101
	v_add_co_ci_u32_e32 v3, vcc_lo, v3, v112, vcc_lo
	s_mov_b32 s17, exec_lo
	s_waitcnt lgkmcnt(0)
	s_delay_alu instid0(VALU_DEP_1)
	v_cmpx_lt_u64_e64 v[18:19], v[2:3]
	s_cbranch_execz .LBB2_616
; %bb.606:                              ;   in Loop: Header=BB2_32 Depth=1
	s_mov_b32 s18, 0
	s_mov_b32 s21, 0
                                        ; implicit-def: $sgpr19
                                        ; implicit-def: $sgpr20
	s_branch .LBB2_608
.LBB2_607:                              ;   in Loop: Header=BB2_608 Depth=2
	s_or_b32 exec_lo, exec_lo, s24
	s_delay_alu instid0(SALU_CYCLE_1) | instskip(NEXT) | instid1(SALU_CYCLE_1)
	s_and_b32 s22, exec_lo, s23
	s_or_b32 s18, s22, s18
	s_and_not1_b32 s19, s19, exec_lo
	s_and_b32 s22, s20, exec_lo
	s_delay_alu instid0(SALU_CYCLE_1)
	s_or_b32 s19, s19, s22
	s_and_not1_b32 exec_lo, exec_lo, s18
	s_cbranch_execz .LBB2_614
.LBB2_608:                              ;   Parent Loop BB2_32 Depth=1
                                        ; =>  This Inner Loop Header: Depth=2
	s_add_i32 s21, s21, 1
                                        ; implicit-def: $sgpr23
	s_delay_alu instid0(SALU_CYCLE_1) | instskip(SKIP_1) | instid1(SALU_CYCLE_1)
	s_cmpk_lg_i32 s21, 0x2710
	s_cselect_b32 s22, -1, 0
	s_and_b32 vcc_lo, exec_lo, s22
	s_cbranch_vccz .LBB2_612
.LBB2_609:                              ;   in Loop: Header=BB2_608 Depth=2
	s_and_not1_b32 s20, s20, exec_lo
	s_and_b32 s24, s23, exec_lo
	s_mov_b32 s23, -1
	s_or_b32 s20, s20, s24
	s_and_saveexec_b32 s24, s22
	s_cbranch_execz .LBB2_607
; %bb.610:                              ;   in Loop: Header=BB2_608 Depth=2
	s_sleep 1
	s_cbranch_execnz .LBB2_698
; %bb.611:                              ;   in Loop: Header=BB2_608 Depth=2
	ds_load_b64 v[18:19], v0
	s_and_not1_b32 s20, s20, exec_lo
	s_waitcnt lgkmcnt(0)
	v_cmp_ge_u64_e32 vcc_lo, v[18:19], v[2:3]
	s_or_not1_b32 s23, vcc_lo, exec_lo
	s_branch .LBB2_607
.LBB2_612:                              ;   in Loop: Header=BB2_608 Depth=2
	s_cbranch_execnz .LBB2_700
; %bb.613:                              ;   in Loop: Header=BB2_608 Depth=2
	ds_load_b64 v[18:19], v0
	s_and_not1_b32 s22, s22, exec_lo
	s_mov_b32 s21, 0
	s_mov_b32 s23, -1
	s_waitcnt lgkmcnt(0)
	flat_load_b32 v18, v[18:19] glc
	s_waitcnt vmcnt(0) lgkmcnt(0)
	buffer_gl1_inv
	buffer_gl0_inv
	v_cmp_eq_u32_e32 vcc_lo, 0, v18
	s_and_b32 s24, vcc_lo, exec_lo
	s_delay_alu instid0(SALU_CYCLE_1)
	s_or_b32 s22, s22, s24
	s_branch .LBB2_609
.LBB2_614:                              ;   in Loop: Header=BB2_32 Depth=1
	s_or_b32 exec_lo, exec_lo, s18
	s_and_saveexec_b32 s18, s19
	s_delay_alu instid0(SALU_CYCLE_1)
	s_xor_b32 s18, exec_lo, s18
	s_cbranch_execz .LBB2_616
; %bb.615:                              ;   in Loop: Header=BB2_32 Depth=1
	ds_store_b32 v0, v129
	s_cbranch_execnz .LBB2_717
.LBB2_616:                              ;   in Loop: Header=BB2_32 Depth=1
	s_or_b32 exec_lo, exec_lo, s17
	;;#ASMSTART
	s_wakeup
	;;#ASMEND
.LBB2_617:                              ;   in Loop: Header=BB2_32 Depth=1
	s_or_b32 exec_lo, exec_lo, s9
.LBB2_618:                              ;   in Loop: Header=BB2_32 Depth=1
	s_and_not1_saveexec_b32 s8, s8
	s_cbranch_execz .LBB2_620
; %bb.619:                              ;   in Loop: Header=BB2_32 Depth=1
	s_waitcnt vmcnt(0) lgkmcnt(0)
	s_waitcnt_vscnt null, 0x0
	buffer_gl1_inv
	buffer_gl0_inv
	s_barrier
.LBB2_620:                              ;   in Loop: Header=BB2_32 Depth=1
	s_or_b32 exec_lo, exec_lo, s8
.LBB2_621:                              ;   in Loop: Header=BB2_32 Depth=1
	s_delay_alu instid0(SALU_CYCLE_1)
	s_or_b32 exec_lo, exec_lo, s7
	s_and_saveexec_b32 s7, s6
	s_cbranch_execz .LBB2_623
; %bb.622:                              ;   in Loop: Header=BB2_32 Depth=1
	v_add_co_u32 v50, vcc_lo, v50, 1
	v_add_co_ci_u32_e32 v51, vcc_lo, 0, v51, vcc_lo
	s_waitcnt vmcnt(0) lgkmcnt(0)
	s_waitcnt_vscnt null, 0x0
	flat_store_b64 v[38:39], v[50:51]
.LBB2_623:                              ;   in Loop: Header=BB2_32 Depth=1
	s_or_b32 exec_lo, exec_lo, s7
	v_add_co_u32 v68, vcc_lo, v68, v66
	v_add_co_ci_u32_e32 v69, vcc_lo, 0, v69, vcc_lo
	v_add_co_u32 v34, vcc_lo, v34, 1
	v_add_co_ci_u32_e32 v35, vcc_lo, 0, v35, vcc_lo
	s_delay_alu instid0(VALU_DEP_3) | instskip(SKIP_1) | instid1(VALU_DEP_1)
	v_cmp_ge_u64_e32 vcc_lo, v[68:69], v[8:9]
	v_add_co_u32 v10, s7, v10, v66
	v_add_co_ci_u32_e64 v11, s7, 0, v11, s7
	s_or_b32 s15, vcc_lo, s15
	s_delay_alu instid0(SALU_CYCLE_1)
	s_and_not1_b32 exec_lo, exec_lo, s15
	s_cbranch_execnz .LBB2_32
; %bb.624:
	s_or_b32 exec_lo, exec_lo, s15
.LBB2_625:
	s_delay_alu instid0(SALU_CYCLE_1)
	s_or_b32 exec_lo, exec_lo, s13
	s_and_saveexec_b32 s1, s12
	s_cbranch_execz .LBB2_627
; %bb.626:
	s_waitcnt vmcnt(0) lgkmcnt(0)
	flat_store_b64 v[28:29], v[50:51] offset:104
.LBB2_627:
	s_or_b32 exec_lo, exec_lo, s1
	s_and_saveexec_b32 s1, s0
	s_cbranch_execz .LBB2_629
; %bb.628:
	s_waitcnt vmcnt(0) lgkmcnt(0)
	flat_store_b64 v[36:37], v[16:17] offset:104
.LBB2_629:
	s_or_b32 exec_lo, exec_lo, s1
	s_delay_alu instid0(SALU_CYCLE_1)
	s_mov_b32 s0, exec_lo
	v_cmpx_ne_u32_e32 32, v1
	s_cbranch_execz .LBB2_708
; %bb.630:
	s_mov_b32 s1, exec_lo
	v_cmpx_ne_u32_e64 v0, v1
	s_xor_b32 s1, exec_lo, s1
	s_cbranch_execz .LBB2_706
; %bb.631:
	v_and_b32_e32 v0, 31, v31
	s_mov_b32 s2, exec_lo
	s_delay_alu instid0(VALU_DEP_1)
	v_cmpx_eq_u32_e32 0, v0
	s_cbranch_execz .LBB2_705
; %bb.632:
	s_mov_b32 s4, exec_lo
	s_mov_b32 s3, exec_lo
	v_mbcnt_lo_u32_b32 v0, s4, 0
	s_waitcnt vmcnt(0) lgkmcnt(0)
	s_waitcnt_vscnt null, 0x0
	buffer_gl1_inv
	buffer_gl0_inv
	v_cmpx_eq_u32_e32 0, v0
	s_cbranch_execz .LBB2_634
; %bb.633:
	s_bcnt1_i32_b32 s4, s4
	s_delay_alu instid0(SALU_CYCLE_1)
	v_dual_mov_b32 v5, 0 :: v_dual_mov_b32 v4, s4
	ds_add_u64 v0, v[4:5]
	s_cbranch_execnz .LBB2_666
.LBB2_634:
	s_or_b32 exec_lo, exec_lo, s3
	s_cbranch_execnz .LBB2_651
; %bb.635:
	v_ashrrev_i32_e32 v0, 31, v1
	s_mov_b32 s3, exec_lo
	s_delay_alu instid0(VALU_DEP_1) | instskip(NEXT) | instid1(VALU_DEP_1)
	v_lshrrev_b32_e32 v0, 27, v0
	v_add_nc_u32_e32 v0, v1, v0
	ds_load_b64 v[4:5], v0
	v_ashrrev_i32_e32 v0, 5, v0
	s_delay_alu instid0(VALU_DEP_1) | instskip(SKIP_1) | instid1(VALU_DEP_2)
	v_ashrrev_i32_e32 v1, 31, v0
	v_add_co_u32 v0, vcc_lo, v2, v0
	v_add_co_ci_u32_e32 v1, vcc_lo, v3, v1, vcc_lo
	s_waitcnt lgkmcnt(0)
	s_delay_alu instid0(VALU_DEP_1)
	v_cmpx_lt_u64_e64 v[4:5], v[0:1]
	s_cbranch_execz .LBB2_704
; %bb.636:
	s_mov_b32 s4, 0
	s_mov_b32 s7, 0
                                        ; implicit-def: $sgpr5
                                        ; implicit-def: $sgpr6
	s_branch .LBB2_656
.LBB2_637:
	s_trap 2
	s_sendmsg_rtn_b32 s0, sendmsg(MSG_RTN_GET_DOORBELL)
	s_mov_b32 ttmp2, m0
	s_waitcnt lgkmcnt(0)
	s_and_b32 s0, s0, 0x3ff
	s_delay_alu instid0(SALU_CYCLE_1) | instskip(NEXT) | instid1(SALU_CYCLE_1)
	s_bitset1_b32 s0, 10
	s_mov_b32 m0, s0
	s_sendmsg sendmsg(MSG_INTERRUPT)
	s_mov_b32 m0, ttmp2
.LBB2_638:                              ; =>This Inner Loop Header: Depth=1
	s_sethalt 5
	s_branch .LBB2_638
.LBB2_639:
	s_trap 2
	s_sendmsg_rtn_b32 s0, sendmsg(MSG_RTN_GET_DOORBELL)
	s_mov_b32 ttmp2, m0
	s_waitcnt lgkmcnt(0)
	s_and_b32 s0, s0, 0x3ff
	s_delay_alu instid0(SALU_CYCLE_1) | instskip(NEXT) | instid1(SALU_CYCLE_1)
	s_bitset1_b32 s0, 10
	s_mov_b32 m0, s0
	s_sendmsg sendmsg(MSG_INTERRUPT)
	s_mov_b32 m0, ttmp2
.LBB2_640:                              ; =>This Inner Loop Header: Depth=1
	s_sethalt 5
	s_branch .LBB2_640
.LBB2_641:
	s_trap 2
	s_sendmsg_rtn_b32 s0, sendmsg(MSG_RTN_GET_DOORBELL)
	s_mov_b32 ttmp2, m0
	s_waitcnt lgkmcnt(0)
	s_and_b32 s0, s0, 0x3ff
	s_delay_alu instid0(SALU_CYCLE_1) | instskip(NEXT) | instid1(SALU_CYCLE_1)
	s_bitset1_b32 s0, 10
	s_mov_b32 m0, s0
	s_sendmsg sendmsg(MSG_INTERRUPT)
	s_mov_b32 m0, ttmp2
.LBB2_642:                              ; =>This Inner Loop Header: Depth=1
	s_sethalt 5
	s_branch .LBB2_642
.LBB2_643:
	s_trap 2
	s_sendmsg_rtn_b32 s0, sendmsg(MSG_RTN_GET_DOORBELL)
	s_mov_b32 ttmp2, m0
	s_waitcnt lgkmcnt(0)
	s_and_b32 s0, s0, 0x3ff
	s_delay_alu instid0(SALU_CYCLE_1) | instskip(NEXT) | instid1(SALU_CYCLE_1)
	s_bitset1_b32 s0, 10
	s_mov_b32 m0, s0
	s_sendmsg sendmsg(MSG_INTERRUPT)
	s_mov_b32 m0, ttmp2
.LBB2_644:                              ; =>This Inner Loop Header: Depth=1
	s_sethalt 5
	s_branch .LBB2_644
.LBB2_645:
	s_trap 2
	s_sendmsg_rtn_b32 s0, sendmsg(MSG_RTN_GET_DOORBELL)
	s_mov_b32 ttmp2, m0
	s_waitcnt lgkmcnt(0)
	s_and_b32 s0, s0, 0x3ff
	s_delay_alu instid0(SALU_CYCLE_1) | instskip(NEXT) | instid1(SALU_CYCLE_1)
	s_bitset1_b32 s0, 10
	s_mov_b32 m0, s0
	s_sendmsg sendmsg(MSG_INTERRUPT)
	s_mov_b32 m0, ttmp2
.LBB2_646:                              ; =>This Inner Loop Header: Depth=1
	s_sethalt 5
	s_branch .LBB2_646
.LBB2_647:
	s_trap 2
	s_sendmsg_rtn_b32 s0, sendmsg(MSG_RTN_GET_DOORBELL)
	s_mov_b32 ttmp2, m0
	s_waitcnt lgkmcnt(0)
	s_and_b32 s0, s0, 0x3ff
	s_delay_alu instid0(SALU_CYCLE_1) | instskip(NEXT) | instid1(SALU_CYCLE_1)
	s_bitset1_b32 s0, 10
	s_mov_b32 m0, s0
	s_sendmsg sendmsg(MSG_INTERRUPT)
	s_mov_b32 m0, ttmp2
.LBB2_648:                              ; =>This Inner Loop Header: Depth=1
	s_sethalt 5
	s_branch .LBB2_648
.LBB2_649:
	s_trap 2
	s_sendmsg_rtn_b32 s0, sendmsg(MSG_RTN_GET_DOORBELL)
	s_mov_b32 ttmp2, m0
	s_waitcnt lgkmcnt(0)
	s_and_b32 s0, s0, 0x3ff
	s_delay_alu instid0(SALU_CYCLE_1) | instskip(NEXT) | instid1(SALU_CYCLE_1)
	s_bitset1_b32 s0, 10
	s_mov_b32 m0, s0
	s_sendmsg sendmsg(MSG_INTERRUPT)
	s_mov_b32 m0, ttmp2
.LBB2_650:                              ; =>This Inner Loop Header: Depth=1
	s_sethalt 5
	s_branch .LBB2_650
.LBB2_651:
	s_trap 2
	s_sendmsg_rtn_b32 s0, sendmsg(MSG_RTN_GET_DOORBELL)
	s_mov_b32 ttmp2, m0
	s_waitcnt lgkmcnt(0)
	s_and_b32 s0, s0, 0x3ff
	s_delay_alu instid0(SALU_CYCLE_1) | instskip(NEXT) | instid1(SALU_CYCLE_1)
	s_bitset1_b32 s0, 10
	s_mov_b32 m0, s0
	s_sendmsg sendmsg(MSG_INTERRUPT)
	s_mov_b32 m0, ttmp2
.LBB2_652:                              ; =>This Inner Loop Header: Depth=1
	s_sethalt 5
	s_branch .LBB2_652
.LBB2_653:
	s_trap 2
	s_sendmsg_rtn_b32 s0, sendmsg(MSG_RTN_GET_DOORBELL)
	s_mov_b32 ttmp2, m0
	s_waitcnt lgkmcnt(0)
	s_and_b32 s0, s0, 0x3ff
	s_delay_alu instid0(SALU_CYCLE_1) | instskip(NEXT) | instid1(SALU_CYCLE_1)
	s_bitset1_b32 s0, 10
	s_mov_b32 m0, s0
	s_sendmsg sendmsg(MSG_INTERRUPT)
	s_mov_b32 m0, ttmp2
.LBB2_654:                              ; =>This Inner Loop Header: Depth=1
	s_sethalt 5
	s_branch .LBB2_654
.LBB2_655:                              ;   in Loop: Header=BB2_656 Depth=1
	s_or_b32 exec_lo, exec_lo, s10
	s_delay_alu instid0(SALU_CYCLE_1) | instskip(NEXT) | instid1(SALU_CYCLE_1)
	s_and_b32 s8, exec_lo, s9
	s_or_b32 s4, s8, s4
	s_and_not1_b32 s5, s5, exec_lo
	s_and_b32 s8, s6, exec_lo
	s_delay_alu instid0(SALU_CYCLE_1)
	s_or_b32 s5, s5, s8
	s_and_not1_b32 exec_lo, exec_lo, s4
	s_cbranch_execz .LBB2_702
.LBB2_656:                              ; =>This Inner Loop Header: Depth=1
	s_add_i32 s7, s7, 1
                                        ; implicit-def: $sgpr9
	s_delay_alu instid0(SALU_CYCLE_1) | instskip(SKIP_1) | instid1(SALU_CYCLE_1)
	s_cmpk_lg_i32 s7, 0x2710
	s_cselect_b32 s8, -1, 0
	s_and_b32 vcc_lo, exec_lo, s8
	s_cbranch_vccz .LBB2_660
.LBB2_657:                              ;   in Loop: Header=BB2_656 Depth=1
	s_and_not1_b32 s6, s6, exec_lo
	s_and_b32 s10, s9, exec_lo
	s_mov_b32 s9, -1
	s_or_b32 s6, s6, s10
	s_and_saveexec_b32 s10, s8
	s_cbranch_execz .LBB2_655
; %bb.658:                              ;   in Loop: Header=BB2_656 Depth=1
	s_sleep 1
	s_cbranch_execnz .LBB2_680
; %bb.659:                              ;   in Loop: Header=BB2_656 Depth=1
	ds_load_b64 v[2:3], v0
	s_and_not1_b32 s6, s6, exec_lo
	s_waitcnt lgkmcnt(0)
	v_cmp_ge_u64_e32 vcc_lo, v[2:3], v[0:1]
	s_or_not1_b32 s9, vcc_lo, exec_lo
	s_branch .LBB2_655
.LBB2_660:                              ;   in Loop: Header=BB2_656 Depth=1
	s_cbranch_execnz .LBB2_686
; %bb.661:                              ;   in Loop: Header=BB2_656 Depth=1
	ds_load_b64 v[2:3], v0
	s_and_not1_b32 s8, s8, exec_lo
	s_mov_b32 s7, 0
	s_mov_b32 s9, -1
	s_waitcnt lgkmcnt(0)
	flat_load_b32 v2, v[2:3] glc
	s_waitcnt vmcnt(0) lgkmcnt(0)
	buffer_gl1_inv
	buffer_gl0_inv
	v_cmp_eq_u32_e32 vcc_lo, 0, v2
	s_and_b32 s10, vcc_lo, exec_lo
	s_delay_alu instid0(SALU_CYCLE_1)
	s_or_b32 s8, s8, s10
	s_branch .LBB2_657
.LBB2_662:
	s_trap 2
	s_sendmsg_rtn_b32 s0, sendmsg(MSG_RTN_GET_DOORBELL)
	s_mov_b32 ttmp2, m0
	s_waitcnt lgkmcnt(0)
	s_and_b32 s0, s0, 0x3ff
	s_delay_alu instid0(SALU_CYCLE_1) | instskip(NEXT) | instid1(SALU_CYCLE_1)
	s_bitset1_b32 s0, 10
	s_mov_b32 m0, s0
	s_sendmsg sendmsg(MSG_INTERRUPT)
	s_mov_b32 m0, ttmp2
.LBB2_663:                              ; =>This Inner Loop Header: Depth=1
	s_sethalt 5
	s_branch .LBB2_663
.LBB2_664:
	s_trap 2
	s_sendmsg_rtn_b32 s0, sendmsg(MSG_RTN_GET_DOORBELL)
	s_mov_b32 ttmp2, m0
	s_waitcnt lgkmcnt(0)
	s_and_b32 s0, s0, 0x3ff
	s_delay_alu instid0(SALU_CYCLE_1) | instskip(NEXT) | instid1(SALU_CYCLE_1)
	s_bitset1_b32 s0, 10
	s_mov_b32 m0, s0
	s_sendmsg sendmsg(MSG_INTERRUPT)
	s_mov_b32 m0, ttmp2
.LBB2_665:                              ; =>This Inner Loop Header: Depth=1
	s_sethalt 5
	s_branch .LBB2_665
.LBB2_666:
	s_trap 2
	s_sendmsg_rtn_b32 s0, sendmsg(MSG_RTN_GET_DOORBELL)
	s_mov_b32 ttmp2, m0
	s_waitcnt lgkmcnt(0)
	s_and_b32 s0, s0, 0x3ff
	s_delay_alu instid0(SALU_CYCLE_1) | instskip(NEXT) | instid1(SALU_CYCLE_1)
	s_bitset1_b32 s0, 10
	s_mov_b32 m0, s0
	s_sendmsg sendmsg(MSG_INTERRUPT)
	s_mov_b32 m0, ttmp2
.LBB2_667:                              ; =>This Inner Loop Header: Depth=1
	s_sethalt 5
	s_branch .LBB2_667
.LBB2_668:
	s_trap 2
	s_sendmsg_rtn_b32 s0, sendmsg(MSG_RTN_GET_DOORBELL)
	s_mov_b32 ttmp2, m0
	s_waitcnt lgkmcnt(0)
	s_and_b32 s0, s0, 0x3ff
	s_delay_alu instid0(SALU_CYCLE_1) | instskip(NEXT) | instid1(SALU_CYCLE_1)
	s_bitset1_b32 s0, 10
	s_mov_b32 m0, s0
	s_sendmsg sendmsg(MSG_INTERRUPT)
	s_mov_b32 m0, ttmp2
.LBB2_669:                              ; =>This Inner Loop Header: Depth=1
	s_sethalt 5
	s_branch .LBB2_669
.LBB2_670:
	s_trap 2
	s_sendmsg_rtn_b32 s0, sendmsg(MSG_RTN_GET_DOORBELL)
	s_mov_b32 ttmp2, m0
	s_waitcnt lgkmcnt(0)
	s_and_b32 s0, s0, 0x3ff
	s_delay_alu instid0(SALU_CYCLE_1) | instskip(NEXT) | instid1(SALU_CYCLE_1)
	s_bitset1_b32 s0, 10
	s_mov_b32 m0, s0
	s_sendmsg sendmsg(MSG_INTERRUPT)
	s_mov_b32 m0, ttmp2
.LBB2_671:                              ; =>This Inner Loop Header: Depth=1
	s_sethalt 5
	s_branch .LBB2_671
.LBB2_672:
	s_trap 2
	s_sendmsg_rtn_b32 s0, sendmsg(MSG_RTN_GET_DOORBELL)
	s_mov_b32 ttmp2, m0
	s_waitcnt lgkmcnt(0)
	s_and_b32 s0, s0, 0x3ff
	s_delay_alu instid0(SALU_CYCLE_1) | instskip(NEXT) | instid1(SALU_CYCLE_1)
	s_bitset1_b32 s0, 10
	s_mov_b32 m0, s0
	s_sendmsg sendmsg(MSG_INTERRUPT)
	s_mov_b32 m0, ttmp2
.LBB2_673:                              ; =>This Inner Loop Header: Depth=1
	s_sethalt 5
	s_branch .LBB2_673
.LBB2_674:
	s_trap 2
	s_sendmsg_rtn_b32 s0, sendmsg(MSG_RTN_GET_DOORBELL)
	s_mov_b32 ttmp2, m0
	s_waitcnt lgkmcnt(0)
	s_and_b32 s0, s0, 0x3ff
	s_delay_alu instid0(SALU_CYCLE_1) | instskip(NEXT) | instid1(SALU_CYCLE_1)
	s_bitset1_b32 s0, 10
	s_mov_b32 m0, s0
	s_sendmsg sendmsg(MSG_INTERRUPT)
	s_mov_b32 m0, ttmp2
.LBB2_675:                              ; =>This Inner Loop Header: Depth=1
	s_sethalt 5
	s_branch .LBB2_675
.LBB2_676:
	s_trap 2
	s_sendmsg_rtn_b32 s0, sendmsg(MSG_RTN_GET_DOORBELL)
	s_mov_b32 ttmp2, m0
	s_waitcnt lgkmcnt(0)
	s_and_b32 s0, s0, 0x3ff
	s_delay_alu instid0(SALU_CYCLE_1) | instskip(NEXT) | instid1(SALU_CYCLE_1)
	s_bitset1_b32 s0, 10
	s_mov_b32 m0, s0
	s_sendmsg sendmsg(MSG_INTERRUPT)
	s_mov_b32 m0, ttmp2
.LBB2_677:                              ; =>This Inner Loop Header: Depth=1
	s_sethalt 5
	s_branch .LBB2_677
.LBB2_678:
	s_trap 2
	s_sendmsg_rtn_b32 s0, sendmsg(MSG_RTN_GET_DOORBELL)
	s_mov_b32 ttmp2, m0
	s_waitcnt lgkmcnt(0)
	s_and_b32 s0, s0, 0x3ff
	s_delay_alu instid0(SALU_CYCLE_1) | instskip(NEXT) | instid1(SALU_CYCLE_1)
	s_bitset1_b32 s0, 10
	s_mov_b32 m0, s0
	s_sendmsg sendmsg(MSG_INTERRUPT)
	s_mov_b32 m0, ttmp2
.LBB2_679:                              ; =>This Inner Loop Header: Depth=1
	s_sethalt 5
	s_branch .LBB2_679
.LBB2_680:
	s_trap 2
	s_sendmsg_rtn_b32 s0, sendmsg(MSG_RTN_GET_DOORBELL)
	s_mov_b32 ttmp2, m0
	s_waitcnt lgkmcnt(0)
	s_and_b32 s0, s0, 0x3ff
	s_delay_alu instid0(SALU_CYCLE_1) | instskip(NEXT) | instid1(SALU_CYCLE_1)
	s_bitset1_b32 s0, 10
	s_mov_b32 m0, s0
	s_sendmsg sendmsg(MSG_INTERRUPT)
	s_mov_b32 m0, ttmp2
.LBB2_681:                              ; =>This Inner Loop Header: Depth=1
	s_sethalt 5
	s_branch .LBB2_681
.LBB2_682:
	s_trap 2
	s_sendmsg_rtn_b32 s0, sendmsg(MSG_RTN_GET_DOORBELL)
	s_mov_b32 ttmp2, m0
	s_waitcnt lgkmcnt(0)
	s_and_b32 s0, s0, 0x3ff
	s_delay_alu instid0(SALU_CYCLE_1) | instskip(NEXT) | instid1(SALU_CYCLE_1)
	s_bitset1_b32 s0, 10
	s_mov_b32 m0, s0
	s_sendmsg sendmsg(MSG_INTERRUPT)
	s_mov_b32 m0, ttmp2
.LBB2_683:                              ; =>This Inner Loop Header: Depth=1
	s_sethalt 5
	s_branch .LBB2_683
.LBB2_684:
	s_trap 2
	s_sendmsg_rtn_b32 s0, sendmsg(MSG_RTN_GET_DOORBELL)
	s_mov_b32 ttmp2, m0
	s_waitcnt lgkmcnt(0)
	s_and_b32 s0, s0, 0x3ff
	s_delay_alu instid0(SALU_CYCLE_1) | instskip(NEXT) | instid1(SALU_CYCLE_1)
	s_bitset1_b32 s0, 10
	s_mov_b32 m0, s0
	s_sendmsg sendmsg(MSG_INTERRUPT)
	s_mov_b32 m0, ttmp2
.LBB2_685:                              ; =>This Inner Loop Header: Depth=1
	s_sethalt 5
	s_branch .LBB2_685
.LBB2_686:
	s_trap 2
	s_sendmsg_rtn_b32 s0, sendmsg(MSG_RTN_GET_DOORBELL)
	s_mov_b32 ttmp2, m0
	s_waitcnt lgkmcnt(0)
	s_and_b32 s0, s0, 0x3ff
	s_delay_alu instid0(SALU_CYCLE_1) | instskip(NEXT) | instid1(SALU_CYCLE_1)
	s_bitset1_b32 s0, 10
	s_mov_b32 m0, s0
	s_sendmsg sendmsg(MSG_INTERRUPT)
	s_mov_b32 m0, ttmp2
.LBB2_687:                              ; =>This Inner Loop Header: Depth=1
	s_sethalt 5
	s_branch .LBB2_687
.LBB2_688:
	s_trap 2
	s_sendmsg_rtn_b32 s0, sendmsg(MSG_RTN_GET_DOORBELL)
	s_mov_b32 ttmp2, m0
	s_waitcnt lgkmcnt(0)
	s_and_b32 s0, s0, 0x3ff
	s_delay_alu instid0(SALU_CYCLE_1) | instskip(NEXT) | instid1(SALU_CYCLE_1)
	s_bitset1_b32 s0, 10
	s_mov_b32 m0, s0
	s_sendmsg sendmsg(MSG_INTERRUPT)
	s_mov_b32 m0, ttmp2
.LBB2_689:                              ; =>This Inner Loop Header: Depth=1
	s_sethalt 5
	s_branch .LBB2_689
.LBB2_690:
	s_trap 2
	s_sendmsg_rtn_b32 s0, sendmsg(MSG_RTN_GET_DOORBELL)
	s_mov_b32 ttmp2, m0
	s_waitcnt lgkmcnt(0)
	s_and_b32 s0, s0, 0x3ff
	s_delay_alu instid0(SALU_CYCLE_1) | instskip(NEXT) | instid1(SALU_CYCLE_1)
	s_bitset1_b32 s0, 10
	s_mov_b32 m0, s0
	s_sendmsg sendmsg(MSG_INTERRUPT)
	s_mov_b32 m0, ttmp2
.LBB2_691:                              ; =>This Inner Loop Header: Depth=1
	s_sethalt 5
	s_branch .LBB2_691
.LBB2_692:
	s_trap 2
	s_sendmsg_rtn_b32 s0, sendmsg(MSG_RTN_GET_DOORBELL)
	s_mov_b32 ttmp2, m0
	s_waitcnt lgkmcnt(0)
	s_and_b32 s0, s0, 0x3ff
	s_delay_alu instid0(SALU_CYCLE_1) | instskip(NEXT) | instid1(SALU_CYCLE_1)
	s_bitset1_b32 s0, 10
	s_mov_b32 m0, s0
	s_sendmsg sendmsg(MSG_INTERRUPT)
	s_mov_b32 m0, ttmp2
.LBB2_693:                              ; =>This Inner Loop Header: Depth=1
	s_sethalt 5
	s_branch .LBB2_693
.LBB2_694:
	s_trap 2
	s_sendmsg_rtn_b32 s0, sendmsg(MSG_RTN_GET_DOORBELL)
	s_mov_b32 ttmp2, m0
	s_waitcnt lgkmcnt(0)
	s_and_b32 s0, s0, 0x3ff
	s_delay_alu instid0(SALU_CYCLE_1) | instskip(NEXT) | instid1(SALU_CYCLE_1)
	s_bitset1_b32 s0, 10
	s_mov_b32 m0, s0
	s_sendmsg sendmsg(MSG_INTERRUPT)
	s_mov_b32 m0, ttmp2
.LBB2_695:                              ; =>This Inner Loop Header: Depth=1
	s_sethalt 5
	s_branch .LBB2_695
.LBB2_696:
	s_trap 2
	s_sendmsg_rtn_b32 s0, sendmsg(MSG_RTN_GET_DOORBELL)
	s_mov_b32 ttmp2, m0
	s_waitcnt lgkmcnt(0)
	s_and_b32 s0, s0, 0x3ff
	s_delay_alu instid0(SALU_CYCLE_1) | instskip(NEXT) | instid1(SALU_CYCLE_1)
	s_bitset1_b32 s0, 10
	s_mov_b32 m0, s0
	s_sendmsg sendmsg(MSG_INTERRUPT)
	s_mov_b32 m0, ttmp2
.LBB2_697:                              ; =>This Inner Loop Header: Depth=1
	s_sethalt 5
	s_branch .LBB2_697
.LBB2_698:
	s_trap 2
	s_sendmsg_rtn_b32 s0, sendmsg(MSG_RTN_GET_DOORBELL)
	s_mov_b32 ttmp2, m0
	s_waitcnt lgkmcnt(0)
	s_and_b32 s0, s0, 0x3ff
	s_delay_alu instid0(SALU_CYCLE_1) | instskip(NEXT) | instid1(SALU_CYCLE_1)
	s_bitset1_b32 s0, 10
	s_mov_b32 m0, s0
	s_sendmsg sendmsg(MSG_INTERRUPT)
	s_mov_b32 m0, ttmp2
.LBB2_699:                              ; =>This Inner Loop Header: Depth=1
	s_sethalt 5
	s_branch .LBB2_699
.LBB2_700:
	s_trap 2
	s_sendmsg_rtn_b32 s0, sendmsg(MSG_RTN_GET_DOORBELL)
	s_mov_b32 ttmp2, m0
	s_waitcnt lgkmcnt(0)
	s_and_b32 s0, s0, 0x3ff
	s_delay_alu instid0(SALU_CYCLE_1) | instskip(NEXT) | instid1(SALU_CYCLE_1)
	s_bitset1_b32 s0, 10
	s_mov_b32 m0, s0
	s_sendmsg sendmsg(MSG_INTERRUPT)
	s_mov_b32 m0, ttmp2
.LBB2_701:                              ; =>This Inner Loop Header: Depth=1
	s_sethalt 5
	s_branch .LBB2_701
.LBB2_702:
	s_or_b32 exec_lo, exec_lo, s4
	s_and_saveexec_b32 s4, s5
	s_delay_alu instid0(SALU_CYCLE_1)
	s_xor_b32 s4, exec_lo, s4
	s_cbranch_execz .LBB2_704
; %bb.703:
	v_mov_b32_e32 v0, 1
	ds_store_b32 v0, v0
	s_cbranch_execnz .LBB2_711
.LBB2_704:
	s_or_b32 exec_lo, exec_lo, s3
	;;#ASMSTART
	s_wakeup
	;;#ASMEND
.LBB2_705:
	s_or_b32 exec_lo, exec_lo, s2
.LBB2_706:
	s_and_not1_saveexec_b32 s1, s1
	s_cbranch_execz .LBB2_708
; %bb.707:
	s_waitcnt vmcnt(0) lgkmcnt(0)
	s_waitcnt_vscnt null, 0x0
	buffer_gl1_inv
	buffer_gl0_inv
	s_barrier
.LBB2_708:
	s_or_b32 exec_lo, exec_lo, s0
	s_waitcnt vmcnt(0) lgkmcnt(0)
	s_setpc_b64 s[30:31]
.LBB2_709:
	s_trap 2
	s_sendmsg_rtn_b32 s0, sendmsg(MSG_RTN_GET_DOORBELL)
	s_mov_b32 ttmp2, m0
	s_waitcnt lgkmcnt(0)
	s_and_b32 s0, s0, 0x3ff
	s_delay_alu instid0(SALU_CYCLE_1) | instskip(NEXT) | instid1(SALU_CYCLE_1)
	s_bitset1_b32 s0, 10
	s_mov_b32 m0, s0
	s_sendmsg sendmsg(MSG_INTERRUPT)
	s_mov_b32 m0, ttmp2
.LBB2_710:                              ; =>This Inner Loop Header: Depth=1
	s_sethalt 5
	s_branch .LBB2_710
.LBB2_711:
	s_trap 2
	s_sendmsg_rtn_b32 s0, sendmsg(MSG_RTN_GET_DOORBELL)
	s_mov_b32 ttmp2, m0
	s_waitcnt lgkmcnt(0)
	s_and_b32 s0, s0, 0x3ff
	s_delay_alu instid0(SALU_CYCLE_1) | instskip(NEXT) | instid1(SALU_CYCLE_1)
	s_bitset1_b32 s0, 10
	s_mov_b32 m0, s0
	s_sendmsg sendmsg(MSG_INTERRUPT)
	s_mov_b32 m0, ttmp2
.LBB2_712:                              ; =>This Inner Loop Header: Depth=1
	s_sethalt 5
	s_branch .LBB2_712
.LBB2_713:
	s_trap 2
	s_sendmsg_rtn_b32 s0, sendmsg(MSG_RTN_GET_DOORBELL)
	s_mov_b32 ttmp2, m0
	s_waitcnt lgkmcnt(0)
	s_and_b32 s0, s0, 0x3ff
	s_delay_alu instid0(SALU_CYCLE_1) | instskip(NEXT) | instid1(SALU_CYCLE_1)
	s_bitset1_b32 s0, 10
	s_mov_b32 m0, s0
	s_sendmsg sendmsg(MSG_INTERRUPT)
	s_mov_b32 m0, ttmp2
.LBB2_714:                              ; =>This Inner Loop Header: Depth=1
	s_sethalt 5
	s_branch .LBB2_714
.LBB2_715:
	s_trap 2
	s_sendmsg_rtn_b32 s0, sendmsg(MSG_RTN_GET_DOORBELL)
	s_mov_b32 ttmp2, m0
	s_waitcnt lgkmcnt(0)
	s_and_b32 s0, s0, 0x3ff
	s_delay_alu instid0(SALU_CYCLE_1) | instskip(NEXT) | instid1(SALU_CYCLE_1)
	s_bitset1_b32 s0, 10
	s_mov_b32 m0, s0
	s_sendmsg sendmsg(MSG_INTERRUPT)
	s_mov_b32 m0, ttmp2
.LBB2_716:                              ; =>This Inner Loop Header: Depth=1
	s_sethalt 5
	s_branch .LBB2_716
.LBB2_717:
	s_trap 2
	s_sendmsg_rtn_b32 s0, sendmsg(MSG_RTN_GET_DOORBELL)
	s_mov_b32 ttmp2, m0
	s_waitcnt lgkmcnt(0)
	s_and_b32 s0, s0, 0x3ff
	s_delay_alu instid0(SALU_CYCLE_1) | instskip(NEXT) | instid1(SALU_CYCLE_1)
	s_bitset1_b32 s0, 10
	s_mov_b32 m0, s0
	s_sendmsg sendmsg(MSG_INTERRUPT)
	s_mov_b32 m0, ttmp2
.LBB2_718:                              ; =>This Inner Loop Header: Depth=1
	s_sethalt 5
	s_branch .LBB2_718
.Lfunc_end2:
	.size	_ZN12_GLOBAL__N_17runRingI11rccl_float87FuncSumIS1_E7ProtoLLLi0ELi2ELi0EEEviiP15ncclDevWorkColl, .Lfunc_end2-_ZN12_GLOBAL__N_17runRingI11rccl_float87FuncSumIS1_E7ProtoLLLi0ELi2ELi0EEEviiP15ncclDevWorkColl
                                        ; -- End function
	.section	.AMDGPU.csdata,"",@progbits
; Function info:
; codeLenInByte = 25648
; NumSgprs: 34
; NumVgprs: 166
; ScratchSize: 0
; MemoryBound: 0
	.text
	.p2align	2                               ; -- Begin function _Z50ncclDevFunc_ReduceScatter_RING_LL_Sum_f8e4m3_0_0_2v
	.type	_Z50ncclDevFunc_ReduceScatter_RING_LL_Sum_f8e4m3_0_0_2v,@function
_Z50ncclDevFunc_ReduceScatter_RING_LL_Sum_f8e4m3_0_0_2v: ; @_Z50ncclDevFunc_ReduceScatter_RING_LL_Sum_f8e4m3_0_0_2v
; %bb.0:
	s_waitcnt vmcnt(0) expcnt(0) lgkmcnt(0)
	s_mov_b32 s0, s33
	s_mov_b32 s33, s32
	s_or_saveexec_b32 s1, -1
	scratch_store_b32 off, v40, s33         ; 4-byte Folded Spill
	s_mov_b32 exec_lo, s1
	v_writelane_b32 v40, s0, 5
	s_add_i32 s32, s32, 16
	v_writelane_b32 v40, s34, 0
	v_writelane_b32 v40, s35, 1
	;; [unrolled: 1-line block ×5, first 2 shown]
	s_cbranch_execnz .LBB3_13
; %bb.1:
	ds_load_b32 v0, v0
	s_waitcnt lgkmcnt(0)
	v_cmp_gt_i32_e32 vcc_lo, 1, v0
	s_cbranch_vccnz .LBB3_12
; %bb.2:
	v_and_b32_e32 v166, 0x3ff, v31
	s_mov_b32 s36, 0
	s_mov_b64 s[34:35], src_shared_base
.LBB3_3:                                ; =>This Inner Loop Header: Depth=1
	s_cbranch_execnz .LBB3_15
; %bb.4:                                ;   in Loop: Header=BB3_3 Depth=1
	ds_load_b32 v0, v0
	s_cmp_eq_u32 s36, 0
	s_cbranch_scc1 .LBB3_8
; %bb.5:                                ;   in Loop: Header=BB3_3 Depth=1
	s_cbranch_execnz .LBB3_19
; %bb.6:                                ;   in Loop: Header=BB3_3 Depth=1
	s_waitcnt lgkmcnt(0)
	ds_load_b32 v1, v0
	s_waitcnt lgkmcnt(0)
	v_xor_b32_e32 v1, v1, v0
	s_delay_alu instid0(VALU_DEP_1) | instskip(NEXT) | instid1(VALU_DEP_1)
	v_and_b32_e32 v1, 0xff0000, v1
	v_cmp_eq_u32_e32 vcc_lo, 0, v1
	s_cbranch_vccnz .LBB3_8
; %bb.7:                                ;   in Loop: Header=BB3_3 Depth=1
	s_waitcnt_vscnt null, 0x0
	s_barrier
	buffer_gl0_inv
	ds_load_b32 v0, v0
.LBB3_8:                                ;   in Loop: Header=BB3_3 Depth=1
	s_waitcnt lgkmcnt(0)
	v_lshrrev_b32_e32 v0, 11, v0
	s_mov_b32 s34, exec_lo
	s_delay_alu instid0(VALU_DEP_1) | instskip(NEXT) | instid1(VALU_DEP_1)
	v_and_b32_e32 v1, 0x1fe0, v0
	v_cmpx_lt_u32_e64 v166, v1
	s_cbranch_execz .LBB3_10
; %bb.9:                                ;   in Loop: Header=BB3_3 Depth=1
	v_dual_mov_b32 v0, v166 :: v_dual_mov_b32 v3, s35
	s_getpc_b64 s[0:1]
	s_add_u32 s0, s0, _ZN12_GLOBAL__N_17runRingI11rccl_float87FuncSumIS1_E7ProtoLLLi0ELi2ELi0EEEviiP15ncclDevWorkColl@rel32@lo+4
	s_addc_u32 s1, s1, _ZN12_GLOBAL__N_17runRingI11rccl_float87FuncSumIS1_E7ProtoLLLi0ELi2ELi0EEEviiP15ncclDevWorkColl@rel32@hi+12
	s_mov_b64 s[28:29], s[8:9]
	s_mov_b32 s27, s12
	s_swappc_b64 s[30:31], s[0:1]
	s_mov_b32 s12, s27
	s_mov_b64 s[8:9], s[28:29]
.LBB3_10:                               ;   in Loop: Header=BB3_3 Depth=1
	s_or_b32 exec_lo, exec_lo, s34
	s_cbranch_execnz .LBB3_17
; %bb.11:                               ;   in Loop: Header=BB3_3 Depth=1
	ds_load_b32 v0, v0
	s_add_i32 s36, s36, 1
	s_waitcnt lgkmcnt(0)
	v_cmp_lt_i32_e32 vcc_lo, s36, v0
	s_cbranch_vccnz .LBB3_3
.LBB3_12:
	v_readlane_b32 s30, v40, 3
	v_readlane_b32 s31, v40, 4
	;; [unrolled: 1-line block ×6, first 2 shown]
	s_or_saveexec_b32 s1, -1
	scratch_load_b32 v40, off, s33          ; 4-byte Folded Reload
	s_mov_b32 exec_lo, s1
	s_add_i32 s32, s32, -16
	s_mov_b32 s33, s0
	s_waitcnt vmcnt(0)
	s_setpc_b64 s[30:31]
.LBB3_13:
	s_trap 2
	s_sendmsg_rtn_b32 s0, sendmsg(MSG_RTN_GET_DOORBELL)
	s_mov_b32 ttmp2, m0
	s_waitcnt lgkmcnt(0)
	s_and_b32 s0, s0, 0x3ff
	s_delay_alu instid0(SALU_CYCLE_1) | instskip(NEXT) | instid1(SALU_CYCLE_1)
	s_bitset1_b32 s0, 10
	s_mov_b32 m0, s0
	s_sendmsg sendmsg(MSG_INTERRUPT)
	s_mov_b32 m0, ttmp2
.LBB3_14:                               ; =>This Inner Loop Header: Depth=1
	s_sethalt 5
	s_branch .LBB3_14
.LBB3_15:
	s_trap 2
	s_sendmsg_rtn_b32 s0, sendmsg(MSG_RTN_GET_DOORBELL)
	s_mov_b32 ttmp2, m0
	s_waitcnt lgkmcnt(0)
	s_and_b32 s0, s0, 0x3ff
	s_delay_alu instid0(SALU_CYCLE_1) | instskip(NEXT) | instid1(SALU_CYCLE_1)
	s_bitset1_b32 s0, 10
	s_mov_b32 m0, s0
	s_sendmsg sendmsg(MSG_INTERRUPT)
	s_mov_b32 m0, ttmp2
.LBB3_16:                               ; =>This Inner Loop Header: Depth=1
	s_sethalt 5
	s_branch .LBB3_16
.LBB3_17:
	s_trap 2
	s_sendmsg_rtn_b32 s0, sendmsg(MSG_RTN_GET_DOORBELL)
	s_mov_b32 ttmp2, m0
	s_waitcnt lgkmcnt(0)
	s_and_b32 s0, s0, 0x3ff
	s_delay_alu instid0(SALU_CYCLE_1) | instskip(NEXT) | instid1(SALU_CYCLE_1)
	s_bitset1_b32 s0, 10
	s_mov_b32 m0, s0
	s_sendmsg sendmsg(MSG_INTERRUPT)
	s_mov_b32 m0, ttmp2
.LBB3_18:                               ; =>This Inner Loop Header: Depth=1
	s_sethalt 5
	s_branch .LBB3_18
.LBB3_19:
	s_trap 2
	s_sendmsg_rtn_b32 s0, sendmsg(MSG_RTN_GET_DOORBELL)
	s_mov_b32 ttmp2, m0
	s_waitcnt lgkmcnt(0)
	s_and_b32 s0, s0, 0x3ff
	s_delay_alu instid0(SALU_CYCLE_1) | instskip(NEXT) | instid1(SALU_CYCLE_1)
	s_bitset1_b32 s0, 10
	s_mov_b32 m0, s0
	s_sendmsg sendmsg(MSG_INTERRUPT)
	s_mov_b32 m0, ttmp2
.LBB3_20:                               ; =>This Inner Loop Header: Depth=1
	s_sethalt 5
	s_branch .LBB3_20
.Lfunc_end3:
	.size	_Z50ncclDevFunc_ReduceScatter_RING_LL_Sum_f8e4m3_0_0_2v, .Lfunc_end3-_Z50ncclDevFunc_ReduceScatter_RING_LL_Sum_f8e4m3_0_0_2v
                                        ; -- End function
	.section	.AMDGPU.csdata,"",@progbits
; Function info:
; codeLenInByte = 612
; NumSgprs: 39
; NumVgprs: 167
; ScratchSize: 16
; MemoryBound: 0
	.text
	.p2align	2                               ; -- Begin function _ZN12_GLOBAL__N_17runRingI11rccl_float87FuncSumIS1_E7ProtoLLLi0ELi4ELi0EEEviiP15ncclDevWorkColl
	.type	_ZN12_GLOBAL__N_17runRingI11rccl_float87FuncSumIS1_E7ProtoLLLi0ELi4ELi0EEEviiP15ncclDevWorkColl,@function
_ZN12_GLOBAL__N_17runRingI11rccl_float87FuncSumIS1_E7ProtoLLLi0ELi4ELi0EEEviiP15ncclDevWorkColl: ; @_ZN12_GLOBAL__N_17runRingI11rccl_float87FuncSumIS1_E7ProtoLLLi0ELi4ELi0EEEviiP15ncclDevWorkColl
; %bb.0:
	s_waitcnt vmcnt(0) expcnt(0) lgkmcnt(0)
	s_cbranch_execnz .LBB4_15
; %bb.1:
	v_mov_b32_e32 v4, v0
	s_clause 0x2
	flat_load_b32 v0, v[2:3]
	flat_load_b128 v[6:9], v[2:3] offset:72
	flat_load_b64 v[18:19], v[2:3] offset:88
	s_mov_b32 s0, exec_lo
                                        ; implicit-def: $vgpr26_vgpr27
	s_waitcnt vmcnt(2) lgkmcnt(2)
	v_and_b32_e32 v11, 0xff, v0
	v_bfe_u32 v10, v0, 8, 8
	s_delay_alu instid0(VALU_DEP_2) | instskip(SKIP_3) | instid1(VALU_DEP_1)
	v_not_b32_e32 v0, v11
	ds_load_b32 v5, v0
	ds_load_b64 v[24:25], v0
	v_add_nc_u32_e32 v12, v10, v0
	v_ashrrev_i32_e32 v13, 31, v12
	s_waitcnt vmcnt(1) lgkmcnt(3)
	v_mul_lo_u32 v14, v9, v12
	v_mad_u64_u32 v[20:21], null, v8, v12, 0
	s_delay_alu instid0(VALU_DEP_3) | instskip(NEXT) | instid1(VALU_DEP_1)
	v_mul_lo_u32 v12, v8, v13
	v_add3_u32 v64, v21, v12, v14
	s_waitcnt lgkmcnt(1)
	v_readfirstlane_b32 s10, v5
                                        ; implicit-def: $vgpr21_vgpr22
	v_cmpx_ne_u32_e64 v11, v5
	s_xor_b32 s0, exec_lo, s0
	s_cbranch_execz .LBB4_7
; %bb.2:
	s_mov_b32 s1, exec_lo
                                        ; implicit-def: $vgpr21_vgpr22
                                        ; implicit-def: $vgpr26_vgpr27
	v_cmpx_ne_u32_e64 v10, v5
	s_xor_b32 s1, exec_lo, s1
	s_cbranch_execz .LBB4_4
; %bb.3:
	flat_load_b64 v[10:11], v[2:3] offset:96
	v_add_nc_u32_e32 v0, v5, v0
	s_delay_alu instid0(VALU_DEP_1) | instskip(SKIP_2) | instid1(VALU_DEP_3)
	v_ashrrev_i32_e32 v5, 31, v0
	v_mul_lo_u32 v12, v9, v0
	v_mad_u64_u32 v[26:27], null, v8, v0, v[6:7]
	v_mul_lo_u32 v5, v8, v5
	s_delay_alu instid0(VALU_DEP_1)
	v_add3_u32 v27, v12, v27, v5
	s_waitcnt vmcnt(0) lgkmcnt(0)
	v_lshrrev_b64 v[21:22], 17, v[10:11]
.LBB4_4:
	s_and_not1_saveexec_b32 s1, s1
	s_cbranch_execz .LBB4_6
; %bb.5:
	flat_load_b32 v0, v[2:3] offset:100
	v_add_co_u32 v26, vcc_lo, v20, v6
	v_add_co_ci_u32_e32 v27, vcc_lo, v64, v7, vcc_lo
	s_waitcnt vmcnt(1)
	v_dual_mov_b32 v8, v18 :: v_dual_mov_b32 v9, v19
	s_waitcnt vmcnt(0) lgkmcnt(0)
	v_lshrrev_b32_e32 v21, 6, v0
.LBB4_6:
	s_or_b32 exec_lo, exec_lo, s1
.LBB4_7:
	s_and_not1_saveexec_b32 s0, s0
	s_cbranch_execz .LBB4_9
; %bb.8:
	flat_load_b64 v[8:9], v[2:3] offset:96
	v_mov_b32_e32 v26, 0
	v_mov_b32_e32 v27, 0
	s_waitcnt vmcnt(0) lgkmcnt(0)
	v_lshlrev_b64 v[21:22], 4, v[8:9]
	v_dual_mov_b32 v9, v7 :: v_dual_mov_b32 v8, v6
.LBB4_9:
	s_or_b32 exec_lo, exec_lo, s0
	s_load_b32 s0, s[8:9], 0x0
	v_mov_b32_e32 v0, 0
	s_mov_b32 s2, 0
	s_waitcnt lgkmcnt(0)
	s_cmp_lt_u32 s12, s0
	s_cselect_b32 s0, 12, 18
	s_delay_alu instid0(SALU_CYCLE_1)
	s_add_u32 s0, s8, s0
	s_addc_u32 s1, s9, 0
	s_clause 0x2
	flat_load_b128 v[10:13], v[2:3] offset:16
	flat_load_u16 v15, v[2:3] offset:8
	flat_load_b32 v14, v[2:3] offset:4
	global_load_u16 v0, v0, s[0:1]
	s_cbranch_execnz .LBB4_17
; %bb.10:
	s_waitcnt vmcnt(0)
	ds_load_b32 v2, v0
	v_ashrrev_i32_e32 v5, 31, v4
	s_waitcnt lgkmcnt(1)
	v_lshrrev_b64 v[14:15], 31, v[14:15]
	s_delay_alu instid0(VALU_DEP_2) | instskip(NEXT) | instid1(VALU_DEP_2)
	v_lshrrev_b32_e32 v3, 27, v5
	v_and_b32_e32 v15, 3, v14
	s_delay_alu instid0(VALU_DEP_2) | instskip(NEXT) | instid1(VALU_DEP_1)
	v_add_nc_u32_e32 v3, v4, v3
	v_and_b32_e32 v3, 0xffffffe0, v3
	s_waitcnt lgkmcnt(0)
	v_cmp_gt_i32_e32 vcc_lo, 0, v2
	s_delay_alu instid0(VALU_DEP_2)
	v_sub_nc_u32_e32 v14, v4, v3
	v_readfirstlane_b32 s1, v2
	s_cbranch_vccnz .LBB4_19
; %bb.11:
	s_delay_alu instid0(VALU_DEP_2)
	v_cmp_eq_u32_e32 vcc_lo, 0, v14
	s_cbranch_execnz .LBB4_23
; %bb.12:
	ds_load_b64 v[16:17], v0
	v_dual_mov_b32 v3, 0 :: v_dual_and_b32 v22, 0xffff, v15
	s_mov_b32 s2, 1
	s_delay_alu instid0(VALU_DEP_1) | instskip(SKIP_1) | instid1(VALU_DEP_1)
	v_lshlrev_b64 v[2:3], 3, v[2:3]
	s_waitcnt lgkmcnt(0)
	v_add_co_u32 v2, s0, v16, v2
	s_delay_alu instid0(VALU_DEP_1)
	v_add_co_ci_u32_e64 v3, s0, v17, v3, s0
	flat_load_b64 v[2:3], v[2:3]
	s_waitcnt vmcnt(0) lgkmcnt(0)
	v_mad_u64_u32 v[16:17], null, 0xa8, v22, v[2:3]
	s_clause 0x1
	flat_load_b64 v[32:33], v[16:17] offset:504
	flat_load_b64 v[34:35], v[16:17] offset:608
	v_add_co_u32 v2, s0, 0x1f8, v16
	s_delay_alu instid0(VALU_DEP_1) | instskip(NEXT) | instid1(VALU_DEP_1)
	v_add_co_ci_u32_e64 v3, s0, 0, v17, s0
	v_dual_cndmask_b32 v28, 0, v2 :: v_dual_cndmask_b32 v29, 0, v3
	s_cbranch_execz .LBB4_20
.LBB4_13:
	s_trap 2
	s_sendmsg_rtn_b32 s0, sendmsg(MSG_RTN_GET_DOORBELL)
	s_mov_b32 ttmp2, m0
	s_waitcnt lgkmcnt(0)
	s_and_b32 s0, s0, 0x3ff
	s_delay_alu instid0(SALU_CYCLE_1) | instskip(NEXT) | instid1(SALU_CYCLE_1)
	s_bitset1_b32 s0, 10
	s_mov_b32 m0, s0
	s_sendmsg sendmsg(MSG_INTERRUPT)
	s_mov_b32 m0, ttmp2
.LBB4_14:                               ; =>This Inner Loop Header: Depth=1
	s_sethalt 5
	s_branch .LBB4_14
.LBB4_15:
	s_trap 2
	s_sendmsg_rtn_b32 s0, sendmsg(MSG_RTN_GET_DOORBELL)
	s_mov_b32 ttmp2, m0
	s_waitcnt lgkmcnt(0)
	s_and_b32 s0, s0, 0x3ff
	s_delay_alu instid0(SALU_CYCLE_1) | instskip(NEXT) | instid1(SALU_CYCLE_1)
	s_bitset1_b32 s0, 10
	s_mov_b32 m0, s0
	s_sendmsg sendmsg(MSG_INTERRUPT)
	s_mov_b32 m0, ttmp2
.LBB4_16:                               ; =>This Inner Loop Header: Depth=1
	s_sethalt 5
	s_branch .LBB4_16
.LBB4_17:
	s_trap 2
	s_sendmsg_rtn_b32 s0, sendmsg(MSG_RTN_GET_DOORBELL)
	s_mov_b32 ttmp2, m0
	s_waitcnt lgkmcnt(0)
	s_and_b32 s0, s0, 0x3ff
	s_delay_alu instid0(SALU_CYCLE_1) | instskip(NEXT) | instid1(SALU_CYCLE_1)
	s_bitset1_b32 s0, 10
	s_mov_b32 m0, s0
	s_sendmsg sendmsg(MSG_INTERRUPT)
	s_mov_b32 m0, ttmp2
.LBB4_18:                               ; =>This Inner Loop Header: Depth=1
	s_sethalt 5
	s_branch .LBB4_18
.LBB4_19:
	v_mov_b32_e32 v28, 0
	v_mov_b32_e32 v29, 0
                                        ; implicit-def: $vgpr34_vgpr35
                                        ; implicit-def: $vgpr32_vgpr33
	s_cbranch_execnz .LBB4_13
.LBB4_20:
	ds_load_b32 v2, v0
	v_mov_b32_e32 v38, 0
	v_mov_b32_e32 v39, 0
	s_waitcnt lgkmcnt(0)
	v_cmp_gt_i32_e32 vcc_lo, 0, v2
	s_cbranch_vccnz .LBB4_25
; %bb.21:
	s_cbranch_execnz .LBB4_637
; %bb.22:
	ds_load_b64 v[16:17], v0
	v_mov_b32_e32 v3, 0
	s_delay_alu instid0(VALU_DEP_1) | instskip(SKIP_1) | instid1(VALU_DEP_1)
	v_lshlrev_b64 v[2:3], 3, v[2:3]
	s_waitcnt lgkmcnt(0)
	v_add_co_u32 v2, vcc_lo, v16, v2
	s_delay_alu instid0(VALU_DEP_2)
	v_add_co_ci_u32_e32 v3, vcc_lo, v17, v3, vcc_lo
	v_and_b32_e32 v17, 0xffff, v15
	v_cmp_eq_u32_e32 vcc_lo, 0, v14
	flat_load_b64 v[2:3], v[2:3]
	s_waitcnt vmcnt(0) lgkmcnt(0)
	v_mad_u64_u32 v[15:16], null, 0xa8, v17, v[2:3]
	s_clause 0x1
	flat_load_b64 v[48:49], v[15:16]
	flat_load_b64 v[22:23], v[15:16] offset:104
	v_dual_cndmask_b32 v36, 0, v15 :: v_dual_cndmask_b32 v37, 0, v16
	s_branch .LBB4_26
.LBB4_23:
	s_trap 2
	s_sendmsg_rtn_b32 s0, sendmsg(MSG_RTN_GET_DOORBELL)
	s_mov_b32 ttmp2, m0
	s_waitcnt lgkmcnt(0)
	s_and_b32 s0, s0, 0x3ff
	s_delay_alu instid0(SALU_CYCLE_1) | instskip(NEXT) | instid1(SALU_CYCLE_1)
	s_bitset1_b32 s0, 10
	s_mov_b32 m0, s0
	s_sendmsg sendmsg(MSG_INTERRUPT)
	s_mov_b32 m0, ttmp2
.LBB4_24:                               ; =>This Inner Loop Header: Depth=1
	s_sethalt 5
	s_branch .LBB4_24
.LBB4_25:
	s_delay_alu instid0(VALU_DEP_2)
	v_dual_mov_b32 v36, v38 :: v_dual_mov_b32 v37, v39
                                        ; implicit-def: $vgpr22_vgpr23
                                        ; implicit-def: $vgpr48_vgpr49
.LBB4_26:
	v_subrev_nc_u32_e32 v2, 32, v1
	v_cmp_gt_i32_e64 s0, s2, v14
                                        ; implicit-def: $vgpr50_vgpr51
	s_delay_alu instid0(VALU_DEP_2) | instskip(NEXT) | instid1(VALU_DEP_2)
	v_cmp_le_i32_e32 vcc_lo, v2, v4
	s_and_b32 s12, vcc_lo, s0
	s_delay_alu instid0(SALU_CYCLE_1)
	s_and_saveexec_b32 s0, s12
; %bb.27:
	s_clause 0x1
	flat_load_b64 v[38:39], v[28:29] offset:56
	flat_load_b64 v[50:51], v[28:29] offset:104
; %bb.28:
	s_or_b32 exec_lo, exec_lo, s0
	v_mov_b32_e32 v2, 0
	v_mov_b32_e32 v3, 0
	v_cmp_gt_i32_e64 s0, s2, v4
                                        ; implicit-def: $vgpr54_vgpr55
	s_delay_alu instid0(VALU_DEP_2) | instskip(SKIP_1) | instid1(VALU_DEP_3)
	v_dual_mov_b32 v15, v3 :: v_dual_mov_b32 v14, v2
	v_dual_mov_b32 v53, v3 :: v_dual_mov_b32 v52, v2
	s_and_saveexec_b32 s2, s0
	s_cbranch_execz .LBB4_30
; %bb.29:
	flat_load_b64 v[52:53], v[36:37] offset:56
	s_waitcnt vmcnt(0) lgkmcnt(0)
	flat_load_b64 v[54:55], v[52:53] glc dlc
	s_waitcnt vmcnt(0)
	flat_load_b128 v[14:17], v[36:37] offset:96
.LBB4_30:
	s_or_b32 exec_lo, exec_lo, s2
	v_and_b32_e32 v0, 0xffff, v0
	s_mov_b32 s13, exec_lo
	v_cmpx_ne_u64_e32 0, v[8:9]
	s_cbranch_execz .LBB4_625
; %bb.31:
	v_add_co_u32 v2, vcc_lo, v18, v6
	s_ashr_i32 s2, s1, 31
	v_add_co_ci_u32_e32 v3, vcc_lo, v19, v7, vcc_lo
	s_delay_alu instid0(VALU_DEP_2)
	v_add_co_u32 v30, vcc_lo, v2, v20
	v_ashrrev_i32_e32 v2, 31, v1
	s_lshr_b32 s2, s2, 29
	s_ashr_i32 s11, s10, 31
	s_add_i32 s1, s1, s2
	s_lshl_b64 s[2:3], s[10:11], 2
	v_add_co_ci_u32_e32 v100, vcc_lo, v3, v64, vcc_lo
	v_add_co_u32 v3, vcc_lo, v24, s2
	v_lshrrev_b32_e32 v18, 27, v2
	v_dual_mov_b32 v65, 0 :: v_dual_lshlrev_b32 v102, 3, v4
	v_and_b32_e32 v66, 0x1fffff0, v21
	v_add_co_ci_u32_e32 v7, vcc_lo, s3, v25, vcc_lo
	v_add_co_u32 v6, vcc_lo, v3, -4
	v_dual_mov_b32 v68, 0 :: v_dual_add_nc_u32 v3, v1, v18
	v_mov_b32_e32 v69, 0
	v_ashrrev_i32_e32 v113, 31, v102
	v_dual_mov_b32 v67, v65 :: v_dual_and_b32 v18, 31, v31
	v_add_co_ci_u32_e32 v7, vcc_lo, -1, v7, vcc_lo
	v_add_co_u32 v115, vcc_lo, v12, v102
	s_delay_alu instid0(VALU_DEP_4) | instskip(NEXT) | instid1(VALU_DEP_4)
	v_add_co_ci_u32_e32 v116, vcc_lo, v13, v113, vcc_lo
	v_cmp_eq_u32_e64 s5, 0, v18
	v_add_co_u32 v117, vcc_lo, v10, v102
	v_lshlrev_b64 v[18:19], 4, v[4:5]
	v_add_co_ci_u32_e32 v118, vcc_lo, v11, v113, vcc_lo
	v_ashrrev_i32_e32 v101, 5, v3
	v_dual_mov_b32 v130, 0 :: v_dual_lshlrev_b32 v103, 3, v1
	v_add_co_u32 v10, vcc_lo, v115, v26
	v_add_co_ci_u32_e32 v11, vcc_lo, v116, v27, vcc_lo
	s_ashr_i32 s4, s1, 3
	s_waitcnt vmcnt(1) lgkmcnt(1)
	v_add_co_u32 v119, vcc_lo, v48, v18
	s_ashr_i32 s14, s1, 7
	v_cmp_ne_u64_e64 s1, 0, v[52:53]
	s_waitcnt vmcnt(0) lgkmcnt(0)
	v_cmp_ne_u64_e64 s2, 0, v[14:15]
	v_cmp_ne_u64_e64 s6, 0, v[38:39]
	v_lshlrev_b32_e32 v5, 6, v1
	v_lshlrev_b64 v[70:71], 4, v[1:2]
	v_mov_b32_e32 v2, v68
	s_and_b32 s11, s4, -16
	v_cmp_ne_u32_e64 s3, 32, v1
	v_cmp_ne_u32_e64 s4, v0, v1
	v_ashrrev_i32_e32 v112, 31, v101
	v_ashrrev_i32_e32 v114, 31, v103
	v_add_co_ci_u32_e32 v128, vcc_lo, v49, v19, vcc_lo
	v_mov_b32_e32 v129, 1
	v_mov_b32_e32 v3, v69
	s_cmp_gt_i32 s10, 2
	s_mov_b32 s15, 0
	s_cselect_b32 s16, -1, 0
.LBB4_32:                               ; =>This Loop Header: Depth=1
                                        ;     Child Loop BB4_39 Depth 2
                                        ;     Child Loop BB4_59 Depth 2
	;; [unrolled: 1-line block ×5, first 2 shown]
                                        ;       Child Loop BB4_92 Depth 3
                                        ;       Child Loop BB4_112 Depth 3
	;; [unrolled: 1-line block ×3, first 2 shown]
                                        ;         Child Loop BB4_138 Depth 4
                                        ;       Child Loop BB4_348 Depth 3
                                        ;       Child Loop BB4_365 Depth 3
                                        ;     Child Loop BB4_370 Depth 2
                                        ;       Child Loop BB4_378 Depth 3
                                        ;     Child Loop BB4_608 Depth 2
	s_waitcnt vmcnt(0) lgkmcnt(0)
	flat_load_b32 v20, v[6:7]
	v_sub_co_u32 v18, vcc_lo, v8, v68
	v_sub_co_ci_u32_e32 v19, vcc_lo, v9, v69, vcc_lo
	s_delay_alu instid0(VALU_DEP_1) | instskip(SKIP_1) | instid1(VALU_DEP_1)
	v_cmp_lt_u64_e32 vcc_lo, v[66:67], v[18:19]
	v_cndmask_b32_e32 v21, v18, v66, vcc_lo
	v_lshl_add_u32 v18, v21, 1, 14
	s_delay_alu instid0(VALU_DEP_1)
	v_and_b32_e32 v132, 0x7fffff0, v18
	s_and_saveexec_b32 s7, s1
	s_cbranch_execz .LBB4_50
; %bb.33:                               ;   in Loop: Header=BB4_32 Depth=1
	v_add_co_u32 v18, vcc_lo, v16, 1
	v_add_co_ci_u32_e32 v19, vcc_lo, 0, v17, vcc_lo
	v_add_co_u32 v80, vcc_lo, v54, 8
	v_add_co_ci_u32_e32 v81, vcc_lo, 0, v55, vcc_lo
	s_mov_b32 s8, exec_lo
	s_delay_alu instid0(VALU_DEP_1)
	v_cmpx_lt_u64_e64 v[80:81], v[18:19]
	s_cbranch_execz .LBB4_47
; %bb.34:                               ;   in Loop: Header=BB4_32 Depth=1
	s_sleep 1
	flat_load_b64 v[54:55], v[52:53] glc
	v_cmp_eq_u32_e32 vcc_lo, 0, v130
	s_and_saveexec_b32 s9, vcc_lo
	s_cbranch_execz .LBB4_46
; %bb.35:                               ;   in Loop: Header=BB4_32 Depth=1
	v_cndmask_b32_e64 v17, 0, 1, vcc_lo
	s_mov_b32 s17, 0
                                        ; implicit-def: $sgpr18
	s_branch .LBB4_39
.LBB4_36:                               ;   in Loop: Header=BB4_39 Depth=2
	s_or_b32 exec_lo, exec_lo, s21
	s_delay_alu instid0(SALU_CYCLE_1)
	s_or_not1_b32 s21, s22, exec_lo
.LBB4_37:                               ;   in Loop: Header=BB4_39 Depth=2
	s_or_b32 exec_lo, exec_lo, s20
	s_xor_b32 s20, s21, -1
	s_and_not1_b32 s18, s18, exec_lo
	s_and_b32 s20, s20, exec_lo
	s_delay_alu instid0(SALU_CYCLE_1)
	s_or_b32 s18, s18, s20
.LBB4_38:                               ;   in Loop: Header=BB4_39 Depth=2
	s_or_b32 exec_lo, exec_lo, s19
	s_delay_alu instid0(SALU_CYCLE_1) | instskip(NEXT) | instid1(SALU_CYCLE_1)
	s_and_b32 s19, exec_lo, s18
	s_or_b32 s17, s19, s17
	s_delay_alu instid0(SALU_CYCLE_1)
	s_and_not1_b32 exec_lo, exec_lo, s17
	s_cbranch_execz .LBB4_45
.LBB4_39:                               ;   Parent Loop BB4_32 Depth=1
                                        ; =>  This Inner Loop Header: Depth=2
	s_waitcnt vmcnt(0) lgkmcnt(0)
	v_add_co_u32 v80, vcc_lo, v54, 8
	v_add_co_ci_u32_e32 v81, vcc_lo, 0, v55, vcc_lo
	v_mov_b32_e32 v130, 0
	s_or_b32 s18, s18, exec_lo
	s_mov_b32 s19, exec_lo
	s_delay_alu instid0(VALU_DEP_2)
	v_cmpx_lt_u64_e64 v[80:81], v[18:19]
	s_cbranch_execz .LBB4_38
; %bb.40:                               ;   in Loop: Header=BB4_39 Depth=2
	s_sleep 1
	flat_load_b64 v[54:55], v[52:53] glc
	v_dual_mov_b32 v130, 0 :: v_dual_add_nc_u32 v17, 1, v17
	s_mov_b32 s21, -1
	s_mov_b32 s20, exec_lo
	s_delay_alu instid0(VALU_DEP_1)
	v_cmpx_eq_u32_e32 0x2710, v17
	s_cbranch_execz .LBB4_37
; %bb.41:                               ;   in Loop: Header=BB4_39 Depth=2
	s_cbranch_execnz .LBB4_643
; %bb.42:                               ;   in Loop: Header=BB4_39 Depth=2
	ds_load_b64 v[80:81], v0
	v_dual_mov_b32 v17, 0 :: v_dual_mov_b32 v130, 0
	s_mov_b32 s22, -1
	s_mov_b32 s21, exec_lo
	s_waitcnt vmcnt(0) lgkmcnt(0)
	s_waitcnt_vscnt null, 0x0
	flat_load_b32 v64, v[80:81] glc
	s_waitcnt vmcnt(0) lgkmcnt(0)
	buffer_gl1_inv
	buffer_gl0_inv
	v_cmpx_ne_u32_e32 0, v64
	s_cbranch_execz .LBB4_36
; %bb.43:                               ;   in Loop: Header=BB4_39 Depth=2
	ds_store_b32 v0, v64
	s_cbranch_execnz .LBB4_668
; %bb.44:                               ;   in Loop: Header=BB4_39 Depth=2
	v_mov_b32_e32 v130, 1
	s_xor_b32 s22, exec_lo, -1
	s_branch .LBB4_36
.LBB4_45:                               ;   in Loop: Header=BB4_32 Depth=1
	s_or_b32 exec_lo, exec_lo, s17
.LBB4_46:                               ;   in Loop: Header=BB4_32 Depth=1
	s_delay_alu instid0(SALU_CYCLE_1)
	s_or_b32 exec_lo, exec_lo, s9
.LBB4_47:                               ;   in Loop: Header=BB4_32 Depth=1
	s_delay_alu instid0(SALU_CYCLE_1)
	s_or_b32 exec_lo, exec_lo, s8
	s_and_saveexec_b32 s8, s2
	s_cbranch_execz .LBB4_49
; %bb.48:                               ;   in Loop: Header=BB4_32 Depth=1
	v_and_b32_e32 v64, 0x7ffffff8, v16
	v_and_b32_e32 v17, 7, v16
	s_delay_alu instid0(VALU_DEP_2) | instskip(NEXT) | instid1(VALU_DEP_2)
	v_cmp_eq_u64_e32 vcc_lo, 0x7ffffff8, v[64:65]
	v_mad_u64_u32 v[80:81], null, v17, 24, v[14:15]
	v_cndmask_b32_e64 v16, v132, s11, vcc_lo
	s_delay_alu instid0(VALU_DEP_1)
	v_ashrrev_i32_e32 v17, 31, v16
	flat_store_b64 v[80:81], v[16:17] offset:8 dlc
	s_waitcnt_vscnt null, 0x0
.LBB4_49:                               ;   in Loop: Header=BB4_32 Depth=1
	s_or_b32 exec_lo, exec_lo, s8
	v_dual_mov_b32 v16, v18 :: v_dual_mov_b32 v17, v19
.LBB4_50:                               ;   in Loop: Header=BB4_32 Depth=1
	s_or_b32 exec_lo, exec_lo, s7
	s_and_saveexec_b32 s7, s3
	s_cbranch_execz .LBB4_72
; %bb.51:                               ;   in Loop: Header=BB4_32 Depth=1
	s_and_saveexec_b32 s8, s4
	s_delay_alu instid0(SALU_CYCLE_1)
	s_xor_b32 s8, exec_lo, s8
	s_cbranch_execz .LBB4_69
; %bb.52:                               ;   in Loop: Header=BB4_32 Depth=1
	s_and_saveexec_b32 s9, s5
	s_cbranch_execz .LBB4_68
; %bb.53:                               ;   in Loop: Header=BB4_32 Depth=1
	s_mov_b32 s18, exec_lo
	s_mov_b32 s17, exec_lo
	v_mbcnt_lo_u32_b32 v18, s18, 0
	s_waitcnt vmcnt(0) lgkmcnt(0)
	s_waitcnt_vscnt null, 0x0
	buffer_gl1_inv
	buffer_gl0_inv
	v_cmpx_eq_u32_e32 0, v18
	s_cbranch_execz .LBB4_55
; %bb.54:                               ;   in Loop: Header=BB4_32 Depth=1
	s_bcnt1_i32_b32 s18, s18
	s_delay_alu instid0(SALU_CYCLE_1)
	v_mov_b32_e32 v64, s18
	ds_add_u64 v0, v[64:65]
	s_cbranch_execnz .LBB4_662
.LBB4_55:                               ;   in Loop: Header=BB4_32 Depth=1
	s_or_b32 exec_lo, exec_lo, s17
	s_cbranch_execnz .LBB4_649
; %bb.56:                               ;   in Loop: Header=BB4_32 Depth=1
	ds_load_b64 v[18:19], v0
	v_add_co_u32 v2, vcc_lo, v2, v101
	v_add_co_ci_u32_e32 v3, vcc_lo, v3, v112, vcc_lo
	s_mov_b32 s17, exec_lo
	s_waitcnt lgkmcnt(0)
	s_delay_alu instid0(VALU_DEP_1)
	v_cmpx_lt_u64_e64 v[18:19], v[2:3]
	s_cbranch_execz .LBB4_67
; %bb.57:                               ;   in Loop: Header=BB4_32 Depth=1
	s_mov_b32 s18, 0
	s_mov_b32 s21, 0
                                        ; implicit-def: $sgpr19
                                        ; implicit-def: $sgpr20
	s_branch .LBB4_59
.LBB4_58:                               ;   in Loop: Header=BB4_59 Depth=2
	s_or_b32 exec_lo, exec_lo, s24
	s_delay_alu instid0(SALU_CYCLE_1) | instskip(NEXT) | instid1(SALU_CYCLE_1)
	s_and_b32 s22, exec_lo, s23
	s_or_b32 s18, s22, s18
	s_and_not1_b32 s19, s19, exec_lo
	s_and_b32 s22, s20, exec_lo
	s_delay_alu instid0(SALU_CYCLE_1)
	s_or_b32 s19, s19, s22
	s_and_not1_b32 exec_lo, exec_lo, s18
	s_cbranch_execz .LBB4_65
.LBB4_59:                               ;   Parent Loop BB4_32 Depth=1
                                        ; =>  This Inner Loop Header: Depth=2
	s_add_i32 s21, s21, 1
                                        ; implicit-def: $sgpr23
	s_delay_alu instid0(SALU_CYCLE_1) | instskip(SKIP_1) | instid1(SALU_CYCLE_1)
	s_cmpk_lg_i32 s21, 0x2710
	s_cselect_b32 s22, -1, 0
	s_and_b32 vcc_lo, exec_lo, s22
	s_cbranch_vccz .LBB4_63
.LBB4_60:                               ;   in Loop: Header=BB4_59 Depth=2
	s_and_not1_b32 s20, s20, exec_lo
	s_and_b32 s24, s23, exec_lo
	s_mov_b32 s23, -1
	s_or_b32 s20, s20, s24
	s_and_saveexec_b32 s24, s22
	s_cbranch_execz .LBB4_58
; %bb.61:                               ;   in Loop: Header=BB4_59 Depth=2
	s_sleep 1
	s_cbranch_execnz .LBB4_676
; %bb.62:                               ;   in Loop: Header=BB4_59 Depth=2
	ds_load_b64 v[18:19], v0
	s_and_not1_b32 s20, s20, exec_lo
	s_waitcnt lgkmcnt(0)
	v_cmp_ge_u64_e32 vcc_lo, v[18:19], v[2:3]
	s_or_not1_b32 s23, vcc_lo, exec_lo
	s_branch .LBB4_58
.LBB4_63:                               ;   in Loop: Header=BB4_59 Depth=2
	s_cbranch_execnz .LBB4_684
; %bb.64:                               ;   in Loop: Header=BB4_59 Depth=2
	ds_load_b64 v[18:19], v0
	s_and_not1_b32 s22, s22, exec_lo
	s_mov_b32 s21, 0
	s_mov_b32 s23, -1
	s_waitcnt lgkmcnt(0)
	flat_load_b32 v18, v[18:19] glc
	s_waitcnt vmcnt(0) lgkmcnt(0)
	buffer_gl1_inv
	buffer_gl0_inv
	v_cmp_eq_u32_e32 vcc_lo, 0, v18
	s_and_b32 s24, vcc_lo, exec_lo
	s_delay_alu instid0(SALU_CYCLE_1)
	s_or_b32 s22, s22, s24
	s_branch .LBB4_60
.LBB4_65:                               ;   in Loop: Header=BB4_32 Depth=1
	s_or_b32 exec_lo, exec_lo, s18
	s_and_saveexec_b32 s18, s19
	s_delay_alu instid0(SALU_CYCLE_1)
	s_xor_b32 s18, exec_lo, s18
	s_cbranch_execz .LBB4_67
; %bb.66:                               ;   in Loop: Header=BB4_32 Depth=1
	ds_store_b32 v0, v129
	s_cbranch_execnz .LBB4_709
.LBB4_67:                               ;   in Loop: Header=BB4_32 Depth=1
	s_or_b32 exec_lo, exec_lo, s17
	;;#ASMSTART
	s_wakeup
	;;#ASMEND
.LBB4_68:                               ;   in Loop: Header=BB4_32 Depth=1
	s_or_b32 exec_lo, exec_lo, s9
.LBB4_69:                               ;   in Loop: Header=BB4_32 Depth=1
	s_and_not1_saveexec_b32 s8, s8
	s_cbranch_execz .LBB4_71
; %bb.70:                               ;   in Loop: Header=BB4_32 Depth=1
	s_waitcnt vmcnt(0) lgkmcnt(0)
	s_waitcnt_vscnt null, 0x0
	buffer_gl1_inv
	buffer_gl0_inv
	s_barrier
.LBB4_71:                               ;   in Loop: Header=BB4_32 Depth=1
	s_or_b32 exec_lo, exec_lo, s8
.LBB4_72:                               ;   in Loop: Header=BB4_32 Depth=1
	s_delay_alu instid0(SALU_CYCLE_1) | instskip(SKIP_2) | instid1(VALU_DEP_2)
	s_or_b32 exec_lo, exec_lo, s7
	v_sub_nc_u32_e32 v131, v21, v102
	v_mov_b32_e32 v80, v4
	v_cmp_lt_i32_e64 s7, 0, v131
	s_delay_alu instid0(VALU_DEP_1)
	s_and_saveexec_b32 s9, s7
	s_cbranch_execz .LBB4_80
; %bb.73:                               ;   in Loop: Header=BB4_32 Depth=1
	v_and_b32_e32 v18, 7, v22
	s_waitcnt vmcnt(0) lgkmcnt(0)
	v_ashrrev_i32_e32 v21, 31, v20
	v_mad_u64_u32 v[81:82], null, v30, v20, v[10:11]
	v_mul_lo_u32 v83, v100, v20
	v_mul_lo_u32 v18, v18, s14
	s_delay_alu instid0(VALU_DEP_4)
	v_mul_lo_u32 v85, v30, v21
	v_mov_b32_e32 v80, v22
	v_mul_lo_u32 v84, v30, v20
	v_add_co_u32 v87, vcc_lo, 0, 0
	v_mov_b32_e32 v64, v131
	s_mov_b32 s17, 0
	v_ashrrev_i32_e32 v19, 31, v18
	v_add3_u32 v82, v83, v82, v85
	v_add_lshl_u32 v96, v10, v84, 3
	s_delay_alu instid0(VALU_DEP_3) | instskip(SKIP_2) | instid1(VALU_DEP_3)
	v_lshlrev_b64 v[20:21], 4, v[18:19]
	v_add_co_ci_u32_e32 v19, vcc_lo, 1, v80, vcc_lo
	v_mov_b32_e32 v80, v4
	v_add_co_u32 v83, vcc_lo, v119, v20
	s_delay_alu instid0(VALU_DEP_4)
	v_add_co_ci_u32_e32 v84, vcc_lo, v128, v21, vcc_lo
	s_set_inst_prefetch_distance 0x1
	s_branch .LBB4_75
	.p2align	6
.LBB4_74:                               ;   in Loop: Header=BB4_75 Depth=2
	s_or_b32 exec_lo, exec_lo, s8
	s_waitcnt vmcnt(0) lgkmcnt(0)
	v_alignbit_b32 v18, v98, v18, v96
	v_alignbit_b32 v20, v97, v98, v96
	v_dual_mov_b32 v21, v19 :: v_dual_add_nc_u32 v80, v80, v1
	v_sub_nc_u32_e32 v64, v64, v103
	s_delay_alu instid0(VALU_DEP_4) | instskip(NEXT) | instid1(VALU_DEP_4)
	v_or_b32_e32 v18, v87, v18
	v_or_b32_e32 v20, v87, v20
	v_add_co_u32 v81, vcc_lo, v81, v103
	v_add_co_ci_u32_e32 v82, vcc_lo, v82, v114, vcc_lo
	global_store_b128 v[83:84], v[18:21], off
	v_cmp_gt_i32_e32 vcc_lo, 1, v64
	v_add_co_u32 v83, s8, v83, v70
	v_add_nc_u32_e32 v96, v96, v5
	v_add_co_ci_u32_e64 v84, s8, v84, v71, s8
	s_or_b32 s17, vcc_lo, s17
	s_delay_alu instid0(SALU_CYCLE_1)
	s_and_not1_b32 exec_lo, exec_lo, s17
	s_cbranch_execz .LBB4_79
.LBB4_75:                               ;   Parent Loop BB4_32 Depth=1
                                        ; =>  This Inner Loop Header: Depth=2
	v_dual_mov_b32 v21, v82 :: v_dual_and_b32 v20, -4, v81
	v_min_u32_e32 v85, 8, v64
	v_dual_mov_b32 v97, 0 :: v_dual_and_b32 v86, 3, v81
	v_mov_b32_e32 v98, 0
	flat_load_b32 v18, v[20:21] glc
	v_add_co_u32 v85, s8, v86, v85
	s_delay_alu instid0(VALU_DEP_1) | instskip(SKIP_1) | instid1(VALU_DEP_1)
	v_add_co_ci_u32_e64 v86, null, 0, 0, s8
	s_mov_b32 s8, exec_lo
	v_cmpx_lt_u64_e32 4, v[85:86]
	s_cbranch_execz .LBB4_77
; %bb.76:                               ;   in Loop: Header=BB4_75 Depth=2
	flat_load_b32 v98, v[20:21] offset:4 glc
.LBB4_77:                               ;   in Loop: Header=BB4_75 Depth=2
	s_or_b32 exec_lo, exec_lo, s8
	s_delay_alu instid0(SALU_CYCLE_1)
	s_mov_b32 s8, exec_lo
	v_cmpx_lt_u64_e32 8, v[85:86]
	s_cbranch_execz .LBB4_74
; %bb.78:                               ;   in Loop: Header=BB4_75 Depth=2
	flat_load_b32 v97, v[20:21] offset:8 glc
	s_branch .LBB4_74
.LBB4_79:                               ;   in Loop: Header=BB4_32 Depth=1
	s_set_inst_prefetch_distance 0x2
	s_or_b32 exec_lo, exec_lo, s17
.LBB4_80:                               ;   in Loop: Header=BB4_32 Depth=1
	s_delay_alu instid0(SALU_CYCLE_1) | instskip(SKIP_2) | instid1(VALU_DEP_2)
	s_or_b32 exec_lo, exec_lo, s9
	v_and_b32_e32 v64, 0x7ffffff8, v22
	v_cmp_gt_i32_e64 s8, s14, v80
	v_cmp_eq_u64_e32 vcc_lo, 0x7ffffff8, v[64:65]
	s_delay_alu instid0(VALU_DEP_2) | instskip(NEXT) | instid1(SALU_CYCLE_1)
	s_and_b32 s8, vcc_lo, s8
	s_and_saveexec_b32 s9, s8
	s_cbranch_execz .LBB4_83
; %bb.81:                               ;   in Loop: Header=BB4_32 Depth=1
	v_and_b32_e32 v18, 7, v22
	v_ashrrev_i32_e32 v81, 31, v80
	v_mov_b32_e32 v64, v22
	s_mov_b32 s17, 0
	s_delay_alu instid0(VALU_DEP_3) | instskip(SKIP_2) | instid1(VALU_DEP_2)
	v_mul_lo_u32 v18, v18, s14
	s_waitcnt vmcnt(0) lgkmcnt(0)
	v_lshlrev_b64 v[20:21], 4, v[80:81]
	v_ashrrev_i32_e32 v19, 31, v18
	s_delay_alu instid0(VALU_DEP_1) | instskip(NEXT) | instid1(VALU_DEP_1)
	v_lshlrev_b64 v[18:19], 4, v[18:19]
	v_add_co_u32 v20, vcc_lo, v20, v18
	s_delay_alu instid0(VALU_DEP_2) | instskip(SKIP_2) | instid1(VALU_DEP_4)
	v_add_co_ci_u32_e32 v21, vcc_lo, v21, v19, vcc_lo
	v_add_co_u32 v18, vcc_lo, 0, 0
	v_add_co_ci_u32_e32 v19, vcc_lo, 1, v64, vcc_lo
	v_add_co_u32 v81, vcc_lo, v48, v20
	s_delay_alu instid0(VALU_DEP_4)
	v_add_co_ci_u32_e32 v82, vcc_lo, v49, v21, vcc_lo
.LBB4_82:                               ;   Parent Loop BB4_32 Depth=1
                                        ; =>  This Inner Loop Header: Depth=2
	s_delay_alu instid0(VALU_DEP_3) | instskip(SKIP_4) | instid1(VALU_DEP_1)
	v_dual_mov_b32 v20, v18 :: v_dual_mov_b32 v21, v19
	v_add_nc_u32_e32 v80, v80, v1
	global_store_b128 v[81:82], v[18:21], off
	v_cmp_le_i32_e32 vcc_lo, s14, v80
	v_add_co_u32 v81, s8, v81, v70
	v_add_co_ci_u32_e64 v82, s8, v82, v71, s8
	s_or_b32 s17, vcc_lo, s17
	s_delay_alu instid0(SALU_CYCLE_1)
	s_and_not1_b32 exec_lo, exec_lo, s17
	s_cbranch_execnz .LBB4_82
.LBB4_83:                               ;   in Loop: Header=BB4_32 Depth=1
	s_or_b32 exec_lo, exec_lo, s9
	v_add_co_u32 v133, vcc_lo, v68, v26
	v_add_co_ci_u32_e32 v134, vcc_lo, v69, v27, vcc_lo
	v_add_co_u32 v80, vcc_lo, v22, 1
	v_add_co_ci_u32_e32 v81, vcc_lo, 0, v23, vcc_lo
	s_and_not1_b32 vcc_lo, exec_lo, s16
	s_cbranch_vccnz .LBB4_367
; %bb.84:                               ;   in Loop: Header=BB4_32 Depth=1
	v_add_co_u32 v82, vcc_lo, v115, v133
	v_add_co_ci_u32_e32 v83, vcc_lo, v116, v134, vcc_lo
	v_add_nc_u16 v135, v22, 1
	s_mov_b32 s17, 2
.LBB4_85:                               ;   Parent Loop BB4_32 Depth=1
                                        ; =>  This Loop Header: Depth=2
                                        ;       Child Loop BB4_92 Depth 3
                                        ;       Child Loop BB4_112 Depth 3
	;; [unrolled: 1-line block ×3, first 2 shown]
                                        ;         Child Loop BB4_138 Depth 4
                                        ;       Child Loop BB4_348 Depth 3
                                        ;       Child Loop BB4_365 Depth 3
	s_delay_alu instid0(SALU_CYCLE_1) | instskip(NEXT) | instid1(SALU_CYCLE_1)
	s_sub_i32 s8, s10, s17
	s_ashr_i32 s9, s8, 31
	s_delay_alu instid0(SALU_CYCLE_1) | instskip(NEXT) | instid1(SALU_CYCLE_1)
	s_lshl_b64 s[8:9], s[8:9], 2
	v_add_co_u32 v18, vcc_lo, v24, s8
	v_add_co_ci_u32_e32 v19, vcc_lo, s9, v25, vcc_lo
	s_waitcnt vmcnt(0) lgkmcnt(0)
	flat_load_b32 v20, v[18:19]
	s_and_saveexec_b32 s8, s1
	s_cbranch_execz .LBB4_103
; %bb.86:                               ;   in Loop: Header=BB4_85 Depth=2
	v_add_co_u32 v18, vcc_lo, v16, 1
	v_add_co_ci_u32_e32 v19, vcc_lo, 0, v17, vcc_lo
	v_add_co_u32 v21, vcc_lo, v54, 8
	v_add_co_ci_u32_e32 v22, vcc_lo, 0, v55, vcc_lo
	s_mov_b32 s9, exec_lo
	s_delay_alu instid0(VALU_DEP_1)
	v_cmpx_lt_u64_e64 v[21:22], v[18:19]
	s_cbranch_execz .LBB4_100
; %bb.87:                               ;   in Loop: Header=BB4_85 Depth=2
	s_sleep 1
	flat_load_b64 v[54:55], v[52:53] glc
	v_cmp_eq_u32_e32 vcc_lo, 0, v130
	s_and_saveexec_b32 s18, vcc_lo
	s_cbranch_execz .LBB4_99
; %bb.88:                               ;   in Loop: Header=BB4_85 Depth=2
	v_cndmask_b32_e64 v17, 0, 1, vcc_lo
	s_mov_b32 s19, 0
                                        ; implicit-def: $sgpr20
	s_branch .LBB4_92
.LBB4_89:                               ;   in Loop: Header=BB4_92 Depth=3
	s_or_b32 exec_lo, exec_lo, s23
	s_delay_alu instid0(SALU_CYCLE_1)
	s_or_not1_b32 s23, s24, exec_lo
.LBB4_90:                               ;   in Loop: Header=BB4_92 Depth=3
	s_or_b32 exec_lo, exec_lo, s22
	s_xor_b32 s22, s23, -1
	s_and_not1_b32 s20, s20, exec_lo
	s_and_b32 s22, s22, exec_lo
	s_delay_alu instid0(SALU_CYCLE_1)
	s_or_b32 s20, s20, s22
.LBB4_91:                               ;   in Loop: Header=BB4_92 Depth=3
	s_or_b32 exec_lo, exec_lo, s21
	s_delay_alu instid0(SALU_CYCLE_1) | instskip(NEXT) | instid1(SALU_CYCLE_1)
	s_and_b32 s21, exec_lo, s20
	s_or_b32 s19, s21, s19
	s_delay_alu instid0(SALU_CYCLE_1)
	s_and_not1_b32 exec_lo, exec_lo, s19
	s_cbranch_execz .LBB4_98
.LBB4_92:                               ;   Parent Loop BB4_32 Depth=1
                                        ;     Parent Loop BB4_85 Depth=2
                                        ; =>    This Inner Loop Header: Depth=3
	s_waitcnt vmcnt(0) lgkmcnt(0)
	v_add_co_u32 v21, vcc_lo, v54, 8
	v_add_co_ci_u32_e32 v22, vcc_lo, 0, v55, vcc_lo
	v_mov_b32_e32 v130, 0
	s_or_b32 s20, s20, exec_lo
	s_mov_b32 s21, exec_lo
	s_delay_alu instid0(VALU_DEP_2)
	v_cmpx_lt_u64_e64 v[21:22], v[18:19]
	s_cbranch_execz .LBB4_91
; %bb.93:                               ;   in Loop: Header=BB4_92 Depth=3
	s_sleep 1
	flat_load_b64 v[54:55], v[52:53] glc
	v_dual_mov_b32 v130, 0 :: v_dual_add_nc_u32 v17, 1, v17
	s_mov_b32 s23, -1
	s_mov_b32 s22, exec_lo
	s_delay_alu instid0(VALU_DEP_1)
	v_cmpx_eq_u32_e32 0x2710, v17
	s_cbranch_execz .LBB4_90
; %bb.94:                               ;   in Loop: Header=BB4_92 Depth=3
	s_cbranch_execnz .LBB4_645
; %bb.95:                               ;   in Loop: Header=BB4_92 Depth=3
	ds_load_b64 v[21:22], v0
	v_dual_mov_b32 v17, 0 :: v_dual_mov_b32 v130, 0
	s_mov_b32 s24, -1
	s_mov_b32 s23, exec_lo
	s_waitcnt vmcnt(0) lgkmcnt(0)
	s_waitcnt_vscnt null, 0x0
	flat_load_b32 v21, v[21:22] glc
	s_waitcnt vmcnt(0) lgkmcnt(0)
	buffer_gl1_inv
	buffer_gl0_inv
	v_cmpx_ne_u32_e32 0, v21
	s_cbranch_execz .LBB4_89
; %bb.96:                               ;   in Loop: Header=BB4_92 Depth=3
	ds_store_b32 v0, v21
	s_cbranch_execnz .LBB4_672
; %bb.97:                               ;   in Loop: Header=BB4_92 Depth=3
	v_mov_b32_e32 v130, 1
	s_xor_b32 s24, exec_lo, -1
	s_branch .LBB4_89
.LBB4_98:                               ;   in Loop: Header=BB4_85 Depth=2
	s_or_b32 exec_lo, exec_lo, s19
.LBB4_99:                               ;   in Loop: Header=BB4_85 Depth=2
	s_delay_alu instid0(SALU_CYCLE_1)
	s_or_b32 exec_lo, exec_lo, s18
.LBB4_100:                              ;   in Loop: Header=BB4_85 Depth=2
	s_delay_alu instid0(SALU_CYCLE_1)
	s_or_b32 exec_lo, exec_lo, s9
	s_and_saveexec_b32 s9, s2
	s_cbranch_execz .LBB4_102
; %bb.101:                              ;   in Loop: Header=BB4_85 Depth=2
	v_and_b32_e32 v64, 0x7ffffff8, v16
	v_and_b32_e32 v17, 7, v16
	s_delay_alu instid0(VALU_DEP_2) | instskip(NEXT) | instid1(VALU_DEP_2)
	v_cmp_eq_u64_e32 vcc_lo, 0x7ffffff8, v[64:65]
	v_mad_u64_u32 v[21:22], null, v17, 24, v[14:15]
	v_cndmask_b32_e64 v16, v132, s11, vcc_lo
	s_delay_alu instid0(VALU_DEP_1)
	v_ashrrev_i32_e32 v17, 31, v16
	flat_store_b64 v[21:22], v[16:17] offset:8 dlc
	s_waitcnt_vscnt null, 0x0
.LBB4_102:                              ;   in Loop: Header=BB4_85 Depth=2
	s_or_b32 exec_lo, exec_lo, s9
	v_dual_mov_b32 v16, v18 :: v_dual_mov_b32 v17, v19
.LBB4_103:                              ;   in Loop: Header=BB4_85 Depth=2
	s_or_b32 exec_lo, exec_lo, s8
	s_and_saveexec_b32 s8, s3
	s_cbranch_execz .LBB4_125
; %bb.104:                              ;   in Loop: Header=BB4_85 Depth=2
	s_and_saveexec_b32 s9, s4
	s_delay_alu instid0(SALU_CYCLE_1)
	s_xor_b32 s9, exec_lo, s9
	s_cbranch_execz .LBB4_122
; %bb.105:                              ;   in Loop: Header=BB4_85 Depth=2
	s_and_saveexec_b32 s18, s5
	s_cbranch_execz .LBB4_121
; %bb.106:                              ;   in Loop: Header=BB4_85 Depth=2
	s_mov_b32 s20, exec_lo
	s_mov_b32 s19, exec_lo
	v_mbcnt_lo_u32_b32 v18, s20, 0
	s_waitcnt vmcnt(0) lgkmcnt(0)
	s_waitcnt_vscnt null, 0x0
	buffer_gl1_inv
	buffer_gl0_inv
	v_cmpx_eq_u32_e32 0, v18
	s_cbranch_execz .LBB4_108
; %bb.107:                              ;   in Loop: Header=BB4_85 Depth=2
	s_bcnt1_i32_b32 s20, s20
	s_delay_alu instid0(SALU_CYCLE_1)
	v_mov_b32_e32 v64, s20
	ds_add_u64 v0, v[64:65]
	s_cbranch_execnz .LBB4_670
.LBB4_108:                              ;   in Loop: Header=BB4_85 Depth=2
	s_or_b32 exec_lo, exec_lo, s19
	s_cbranch_execnz .LBB4_664
; %bb.109:                              ;   in Loop: Header=BB4_85 Depth=2
	ds_load_b64 v[18:19], v0
	v_add_co_u32 v2, vcc_lo, v2, v101
	v_add_co_ci_u32_e32 v3, vcc_lo, v3, v112, vcc_lo
	s_mov_b32 s19, exec_lo
	s_waitcnt lgkmcnt(0)
	s_delay_alu instid0(VALU_DEP_1)
	v_cmpx_lt_u64_e64 v[18:19], v[2:3]
	s_cbranch_execz .LBB4_120
; %bb.110:                              ;   in Loop: Header=BB4_85 Depth=2
	s_mov_b32 s20, 0
	s_mov_b32 s23, 0
                                        ; implicit-def: $sgpr21
                                        ; implicit-def: $sgpr22
	s_branch .LBB4_112
.LBB4_111:                              ;   in Loop: Header=BB4_112 Depth=3
	s_or_b32 exec_lo, exec_lo, s26
	s_delay_alu instid0(SALU_CYCLE_1) | instskip(NEXT) | instid1(SALU_CYCLE_1)
	s_and_b32 s24, exec_lo, s25
	s_or_b32 s20, s24, s20
	s_and_not1_b32 s21, s21, exec_lo
	s_and_b32 s24, s22, exec_lo
	s_delay_alu instid0(SALU_CYCLE_1)
	s_or_b32 s21, s21, s24
	s_and_not1_b32 exec_lo, exec_lo, s20
	s_cbranch_execz .LBB4_118
.LBB4_112:                              ;   Parent Loop BB4_32 Depth=1
                                        ;     Parent Loop BB4_85 Depth=2
                                        ; =>    This Inner Loop Header: Depth=3
	s_add_i32 s23, s23, 1
                                        ; implicit-def: $sgpr25
	s_delay_alu instid0(SALU_CYCLE_1) | instskip(SKIP_1) | instid1(SALU_CYCLE_1)
	s_cmpk_lg_i32 s23, 0x2710
	s_cselect_b32 s24, -1, 0
	s_and_b32 vcc_lo, exec_lo, s24
	s_cbranch_vccz .LBB4_116
.LBB4_113:                              ;   in Loop: Header=BB4_112 Depth=3
	s_and_not1_b32 s22, s22, exec_lo
	s_and_b32 s26, s25, exec_lo
	s_mov_b32 s25, -1
	s_or_b32 s22, s22, s26
	s_and_saveexec_b32 s26, s24
	s_cbranch_execz .LBB4_111
; %bb.114:                              ;   in Loop: Header=BB4_112 Depth=3
	s_sleep 1
	s_cbranch_execnz .LBB4_688
; %bb.115:                              ;   in Loop: Header=BB4_112 Depth=3
	ds_load_b64 v[18:19], v0
	s_and_not1_b32 s22, s22, exec_lo
	s_waitcnt lgkmcnt(0)
	v_cmp_ge_u64_e32 vcc_lo, v[18:19], v[2:3]
	s_or_not1_b32 s25, vcc_lo, exec_lo
	s_branch .LBB4_111
.LBB4_116:                              ;   in Loop: Header=BB4_112 Depth=3
	s_cbranch_execnz .LBB4_692
; %bb.117:                              ;   in Loop: Header=BB4_112 Depth=3
	ds_load_b64 v[18:19], v0
	s_and_not1_b32 s24, s24, exec_lo
	s_mov_b32 s23, 0
	s_mov_b32 s25, -1
	s_waitcnt lgkmcnt(0)
	flat_load_b32 v18, v[18:19] glc
	s_waitcnt vmcnt(0) lgkmcnt(0)
	buffer_gl1_inv
	buffer_gl0_inv
	v_cmp_eq_u32_e32 vcc_lo, 0, v18
	s_and_b32 s26, vcc_lo, exec_lo
	s_delay_alu instid0(SALU_CYCLE_1)
	s_or_b32 s24, s24, s26
	s_branch .LBB4_113
.LBB4_118:                              ;   in Loop: Header=BB4_85 Depth=2
	s_or_b32 exec_lo, exec_lo, s20
	s_and_saveexec_b32 s20, s21
	s_delay_alu instid0(SALU_CYCLE_1)
	s_xor_b32 s20, exec_lo, s20
	s_cbranch_execz .LBB4_120
; %bb.119:                              ;   in Loop: Header=BB4_85 Depth=2
	ds_store_b32 v0, v129
	s_cbranch_execnz .LBB4_713
.LBB4_120:                              ;   in Loop: Header=BB4_85 Depth=2
	s_or_b32 exec_lo, exec_lo, s19
	;;#ASMSTART
	s_wakeup
	;;#ASMEND
.LBB4_121:                              ;   in Loop: Header=BB4_85 Depth=2
	s_or_b32 exec_lo, exec_lo, s18
.LBB4_122:                              ;   in Loop: Header=BB4_85 Depth=2
	s_and_not1_saveexec_b32 s9, s9
	s_cbranch_execz .LBB4_124
; %bb.123:                              ;   in Loop: Header=BB4_85 Depth=2
	s_waitcnt vmcnt(0) lgkmcnt(0)
	s_waitcnt_vscnt null, 0x0
	buffer_gl1_inv
	buffer_gl0_inv
	s_barrier
.LBB4_124:                              ;   in Loop: Header=BB4_85 Depth=2
	s_or_b32 exec_lo, exec_lo, s9
.LBB4_125:                              ;   in Loop: Header=BB4_85 Depth=2
	s_delay_alu instid0(SALU_CYCLE_1)
	s_or_b32 exec_lo, exec_lo, s8
	v_mov_b32_e32 v84, v4
	s_and_saveexec_b32 s18, s7
	s_cbranch_execz .LBB4_339
; %bb.126:                              ;   in Loop: Header=BB4_85 Depth=2
	v_dual_mov_b32 v149, v131 :: v_dual_and_b32 v18, 7, v34
	v_dual_mov_b32 v84, v80 :: v_dual_and_b32 v19, 7, v80
	s_waitcnt vmcnt(0) lgkmcnt(0)
	v_ashrrev_i32_e32 v22, 31, v20
	s_delay_alu instid0(VALU_DEP_3)
	v_mul_lo_u32 v18, v18, s14
	v_mad_u64_u32 v[86:87], null, v30, v20, v[82:83]
	v_mul_lo_u32 v21, v19, s14
	v_mul_lo_u32 v20, v100, v20
	;; [unrolled: 1-line block ×3, first 2 shown]
	v_add_nc_u32_e32 v64, 1, v34
	s_mov_b32 s19, 0
	v_ashrrev_i32_e32 v19, 31, v18
	v_ashrrev_i32_e32 v22, 31, v21
	s_delay_alu instid0(VALU_DEP_4) | instskip(NEXT) | instid1(VALU_DEP_3)
	v_add3_u32 v87, v20, v87, v23
	v_lshlrev_b64 v[18:19], 4, v[18:19]
	s_delay_alu instid0(VALU_DEP_3) | instskip(NEXT) | instid1(VALU_DEP_2)
	v_lshlrev_b64 v[20:21], 4, v[21:22]
	v_add_co_u32 v144, vcc_lo, v32, v18
	s_delay_alu instid0(VALU_DEP_3) | instskip(NEXT) | instid1(VALU_DEP_3)
	v_add_co_ci_u32_e32 v145, vcc_lo, v33, v19, vcc_lo
	v_add_co_u32 v146, vcc_lo, v48, v20
	s_delay_alu instid0(VALU_DEP_4)
	v_add_co_ci_u32_e32 v147, vcc_lo, v49, v21, vcc_lo
	v_add_co_u32 v148, vcc_lo, 0, 0
	v_add_co_ci_u32_e32 v19, vcc_lo, 1, v84, vcc_lo
	v_mov_b32_e32 v84, v4
	s_branch .LBB4_130
.LBB4_127:                              ;   in Loop: Header=BB4_130 Depth=3
	s_or_b32 exec_lo, exec_lo, s8
	s_delay_alu instid0(VALU_DEP_1) | instskip(NEXT) | instid1(VALU_DEP_2)
	v_lshrrev_b32_e32 v151, 20, v151
	v_cmp_gt_i32_e32 vcc_lo, 16, v85
	v_min_i32_e32 v160, 15, v85
	v_lshrrev_b32_e32 v22, 24, v22
	s_delay_alu instid0(VALU_DEP_2) | instskip(NEXT) | instid1(VALU_DEP_2)
	v_dual_cndmask_b32 v151, 7, v151 :: v_dual_lshlrev_b32 v160, 3, v160
	v_and_b32_e32 v22, 0x80, v22
	s_delay_alu instid0(VALU_DEP_2) | instskip(SKIP_1) | instid1(VALU_DEP_2)
	v_or_b32_e32 v85, v85, v151
	v_and_b32_e32 v161, 7, v151
	v_cmp_ne_u32_e32 vcc_lo, 0, v85
	v_and_b32_e32 v160, 0xf8, v160
	s_delay_alu instid0(VALU_DEP_1) | instskip(NEXT) | instid1(VALU_DEP_1)
	v_or3_b32 v22, v22, v160, v161
	v_lshlrev_b32_e32 v22, 8, v22
	s_delay_alu instid0(VALU_DEP_1)
	v_cndmask_b32_e32 v85, 0, v22, vcc_lo
.LBB4_128:                              ;   in Loop: Header=BB4_130 Depth=3
	s_or_b32 exec_lo, exec_lo, s20
.LBB4_129:                              ;   in Loop: Header=BB4_130 Depth=3
	s_delay_alu instid0(SALU_CYCLE_1) | instskip(SKIP_4) | instid1(VALU_DEP_4)
	s_or_b32 exec_lo, exec_lo, s9
	v_and_b32_e32 v22, 0xff, v23
	v_lshlrev_b32_e32 v21, 8, v21
	v_or_b32_e32 v23, v85, v150
	v_add_co_u32 v86, vcc_lo, v86, v103
	v_lshlrev_b32_e32 v22, 16, v22
	v_sub_nc_u32_e32 v149, v149, v103
	v_add_co_ci_u32_e32 v87, vcc_lo, v87, v114, vcc_lo
	v_and_or_b32 v85, 0xff, v98, v99
	v_perm_b32 v18, v21, v18, 0xc0c0500
	v_lshl_or_b32 v20, v20, 24, v22
	v_lshlrev_b32_e32 v21, 16, v23
	v_add_co_u32 v22, vcc_lo, v146, v96
	v_add_co_ci_u32_e32 v23, vcc_lo, v147, v97, vcc_lo
	v_cmp_gt_i32_e32 vcc_lo, 1, v149
	v_or3_b32 v18, v20, v18, v148
	v_or3_b32 v20, v85, v21, v148
	v_dual_mov_b32 v21, v19 :: v_dual_add_nc_u32 v84, v84, v1
	s_or_b32 s19, vcc_lo, s19
	global_store_b128 v[22:23], v[18:21], off
	s_and_not1_b32 exec_lo, exec_lo, s19
	s_cbranch_execz .LBB4_338
.LBB4_130:                              ;   Parent Loop BB4_32 Depth=1
                                        ;     Parent Loop BB4_85 Depth=2
                                        ; =>    This Loop Header: Depth=3
                                        ;         Child Loop BB4_138 Depth 4
	v_dual_mov_b32 v21, v87 :: v_dual_and_b32 v20, -4, v86
	v_min_u32_e32 v22, 8, v149
	v_dual_mov_b32 v150, 0 :: v_dual_and_b32 v23, 3, v86
	v_mov_b32_e32 v151, 0
	flat_load_b32 v18, v[20:21] glc
	v_add_co_u32 v22, s8, v23, v22
	s_delay_alu instid0(VALU_DEP_1) | instskip(SKIP_1) | instid1(VALU_DEP_1)
	v_add_co_ci_u32_e64 v23, null, 0, 0, s8
	s_mov_b32 s8, exec_lo
	v_cmpx_lt_u64_e32 4, v[22:23]
	s_cbranch_execz .LBB4_132
; %bb.131:                              ;   in Loop: Header=BB4_130 Depth=3
	flat_load_b32 v151, v[20:21] offset:4 glc
.LBB4_132:                              ;   in Loop: Header=BB4_130 Depth=3
	s_or_b32 exec_lo, exec_lo, s8
	s_delay_alu instid0(SALU_CYCLE_1)
	s_mov_b32 s8, exec_lo
	v_cmpx_lt_u64_e32 8, v[22:23]
	s_cbranch_execz .LBB4_134
; %bb.133:                              ;   in Loop: Header=BB4_130 Depth=3
	flat_load_b32 v150, v[20:21] offset:8 glc
.LBB4_134:                              ;   in Loop: Header=BB4_130 Depth=3
	s_or_b32 exec_lo, exec_lo, s8
	v_ashrrev_i32_e32 v85, 31, v84
	s_delay_alu instid0(VALU_DEP_1) | instskip(NEXT) | instid1(VALU_DEP_1)
	v_lshlrev_b64 v[96:97], 4, v[84:85]
	v_add_co_u32 v98, vcc_lo, v144, v96
	s_delay_alu instid0(VALU_DEP_2)
	v_add_co_ci_u32_e32 v99, vcc_lo, v145, v97, vcc_lo
	v_cmp_eq_u32_e32 vcc_lo, 0, v130
	;;#ASMSTART
	global_load_b128 v[20:23], v[98:99], off glc slc dlc
s_waitcnt vmcnt(0)

	;;#ASMEND
	s_and_saveexec_b32 s20, vcc_lo
	s_cbranch_execz .LBB4_148
; %bb.135:                              ;   in Loop: Header=BB4_130 Depth=3
	v_cmp_ne_u32_e64 s8, v64, v21
	v_cmp_ne_u32_e64 s9, v64, v23
	v_mov_b32_e32 v130, 0
	s_delay_alu instid0(VALU_DEP_2) | instskip(NEXT) | instid1(SALU_CYCLE_1)
	s_or_b32 s8, s8, s9
	s_and_saveexec_b32 s9, s8
	s_cbranch_execz .LBB4_147
; %bb.136:                              ;   in Loop: Header=BB4_130 Depth=3
	v_cndmask_b32_e64 v85, 0, 1, vcc_lo
	s_mov_b32 s21, 0
                                        ; implicit-def: $sgpr22
                                        ; implicit-def: $sgpr23
	s_branch .LBB4_138
.LBB4_137:                              ;   in Loop: Header=BB4_138 Depth=4
	s_or_b32 exec_lo, exec_lo, s24
	s_delay_alu instid0(SALU_CYCLE_1) | instskip(NEXT) | instid1(SALU_CYCLE_1)
	s_and_b32 s8, exec_lo, s8
	s_or_b32 s21, s8, s21
	s_and_not1_b32 s8, s22, exec_lo
	s_and_b32 s22, s23, exec_lo
	s_delay_alu instid0(SALU_CYCLE_1)
	s_or_b32 s22, s8, s22
	s_and_not1_b32 exec_lo, exec_lo, s21
	s_cbranch_execz .LBB4_146
.LBB4_138:                              ;   Parent Loop BB4_32 Depth=1
                                        ;     Parent Loop BB4_85 Depth=2
                                        ;       Parent Loop BB4_130 Depth=3
                                        ; =>      This Inner Loop Header: Depth=4
	s_delay_alu instid0(VALU_DEP_1)
	v_dual_mov_b32 v130, 0 :: v_dual_add_nc_u32 v85, 1, v85
	s_mov_b32 s8, -1
	s_mov_b32 s25, -1
	s_mov_b32 s24, exec_lo
	;;#ASMSTART
	global_load_b128 v[20:23], v[98:99], off glc slc dlc
s_waitcnt vmcnt(0)

	;;#ASMEND
	v_cmpx_eq_u32_e32 0x2710, v85
	s_cbranch_execz .LBB4_144
; %bb.139:                              ;   in Loop: Header=BB4_138 Depth=4
	s_cbranch_execnz .LBB4_639
; %bb.140:                              ;   in Loop: Header=BB4_138 Depth=4
	ds_load_b64 v[160:161], v0
	v_dual_mov_b32 v85, 0 :: v_dual_mov_b32 v130, 0
	s_mov_b32 s26, -1
	s_mov_b32 s25, exec_lo
	s_waitcnt vmcnt(0) lgkmcnt(0)
	s_waitcnt_vscnt null, 0x0
	flat_load_b32 v160, v[160:161] glc
	s_waitcnt vmcnt(0) lgkmcnt(0)
	buffer_gl1_inv
	buffer_gl0_inv
	v_cmpx_ne_u32_e32 0, v160
	s_cbranch_execz .LBB4_143
; %bb.141:                              ;   in Loop: Header=BB4_138 Depth=4
	ds_store_b32 v0, v160
	s_cbranch_execnz .LBB4_647
; %bb.142:                              ;   in Loop: Header=BB4_138 Depth=4
	v_mov_b32_e32 v130, 1
	s_xor_b32 s26, exec_lo, -1
.LBB4_143:                              ;   in Loop: Header=BB4_138 Depth=4
	s_or_b32 exec_lo, exec_lo, s25
	s_delay_alu instid0(SALU_CYCLE_1)
	s_or_not1_b32 s25, s26, exec_lo
.LBB4_144:                              ;   in Loop: Header=BB4_138 Depth=4
	s_or_b32 exec_lo, exec_lo, s24
	s_delay_alu instid0(SALU_CYCLE_1)
	s_or_b32 s23, s23, exec_lo
	s_and_saveexec_b32 s24, s25
	s_cbranch_execz .LBB4_137
; %bb.145:                              ;   in Loop: Header=BB4_138 Depth=4
	v_cmp_eq_u32_e32 vcc_lo, v64, v21
	v_cmp_eq_u32_e64 s8, v64, v23
	s_and_not1_b32 s23, s23, exec_lo
	s_delay_alu instid0(VALU_DEP_1) | instskip(NEXT) | instid1(SALU_CYCLE_1)
	s_and_b32 s8, vcc_lo, s8
	s_or_not1_b32 s8, s8, exec_lo
	s_branch .LBB4_137
.LBB4_146:                              ;   in Loop: Header=BB4_130 Depth=3
	s_or_b32 exec_lo, exec_lo, s21
	s_xor_b32 s8, s22, -1
	s_delay_alu instid0(SALU_CYCLE_1) | instskip(NEXT) | instid1(SALU_CYCLE_1)
	s_and_saveexec_b32 s21, s8
	s_xor_b32 s8, exec_lo, s21
	s_delay_alu instid0(SALU_CYCLE_1) | instskip(NEXT) | instid1(SALU_CYCLE_1)
	s_and_not1_saveexec_b32 s8, s8
	s_or_b32 exec_lo, exec_lo, s8
.LBB4_147:                              ;   in Loop: Header=BB4_130 Depth=3
	s_delay_alu instid0(SALU_CYCLE_1)
	s_or_b32 exec_lo, exec_lo, s9
.LBB4_148:                              ;   in Loop: Header=BB4_130 Depth=3
	s_delay_alu instid0(SALU_CYCLE_1) | instskip(SKIP_3) | instid1(VALU_DEP_1)
	s_or_b32 exec_lo, exec_lo, s20
	v_and_b32_e32 v23, 0xff, v20
	s_mov_b32 s8, 0
	s_mov_b32 s20, exec_lo
                                        ; implicit-def: $sgpr9
	v_cmpx_lt_i16_e32 0x7f, v23
	s_xor_b32 s20, exec_lo, s20
	s_cbranch_execnz .LBB4_274
; %bb.149:                              ;   in Loop: Header=BB4_130 Depth=3
	s_or_saveexec_b32 s20, s20
	v_mov_b32_e32 v21, s9
	s_xor_b32 exec_lo, exec_lo, s20
	s_cbranch_execnz .LBB4_277
.LBB4_150:                              ;   in Loop: Header=BB4_130 Depth=3
	s_or_b32 exec_lo, exec_lo, s20
	s_and_saveexec_b32 s9, s8
	s_cbranch_execz .LBB4_152
.LBB4_151:                              ;   in Loop: Header=BB4_130 Depth=3
	v_and_b32_e32 v21, 7, v20
	v_bfe_u32 v98, v20, 3, 4
	v_lshlrev_b32_e32 v99, 24, v20
	s_delay_alu instid0(VALU_DEP_3) | instskip(NEXT) | instid1(VALU_DEP_3)
	v_clz_i32_u32_e32 v23, v21
	v_cmp_eq_u32_e32 vcc_lo, 0, v98
	s_delay_alu instid0(VALU_DEP_2) | instskip(NEXT) | instid1(VALU_DEP_1)
	v_min_u32_e32 v23, 32, v23
	v_subrev_nc_u32_e32 v85, 28, v23
	v_sub_nc_u32_e32 v23, 29, v23
	s_delay_alu instid0(VALU_DEP_2) | instskip(NEXT) | instid1(VALU_DEP_2)
	v_lshlrev_b32_e32 v85, v85, v20
	v_cndmask_b32_e32 v23, v98, v23, vcc_lo
	s_delay_alu instid0(VALU_DEP_2) | instskip(NEXT) | instid1(VALU_DEP_2)
	v_and_b32_e32 v85, 7, v85
	v_lshl_add_u32 v23, v23, 23, 0x3b800000
	s_delay_alu instid0(VALU_DEP_2) | instskip(SKIP_1) | instid1(VALU_DEP_2)
	v_cndmask_b32_e32 v21, v21, v85, vcc_lo
	v_and_b32_e32 v85, 0x80000000, v99
	v_lshlrev_b32_e32 v21, 20, v21
	s_delay_alu instid0(VALU_DEP_1)
	v_or3_b32 v21, v85, v23, v21
.LBB4_152:                              ;   in Loop: Header=BB4_130 Depth=3
	s_or_b32 exec_lo, exec_lo, s9
	v_lshlrev_b32_e32 v85, 3, v86
	s_mov_b32 s8, 0
	s_mov_b32 s20, exec_lo
                                        ; implicit-def: $sgpr9
	s_waitcnt vmcnt(0) lgkmcnt(0)
	s_delay_alu instid0(VALU_DEP_1) | instskip(NEXT) | instid1(VALU_DEP_1)
	v_alignbit_b32 v98, v151, v18, v85
	v_and_b32_e32 v23, 0xff, v98
	s_delay_alu instid0(VALU_DEP_1)
	v_cmpx_lt_i16_e32 0x7f, v23
	s_xor_b32 s20, exec_lo, s20
	s_cbranch_execnz .LBB4_278
; %bb.153:                              ;   in Loop: Header=BB4_130 Depth=3
	s_or_saveexec_b32 s20, s20
	v_mov_b32_e32 v18, s9
	s_xor_b32 exec_lo, exec_lo, s20
	s_cbranch_execnz .LBB4_281
.LBB4_154:                              ;   in Loop: Header=BB4_130 Depth=3
	s_or_b32 exec_lo, exec_lo, s20
	s_and_saveexec_b32 s9, s8
	s_cbranch_execz .LBB4_156
.LBB4_155:                              ;   in Loop: Header=BB4_130 Depth=3
	v_bfe_u32 v160, v98, 3, 4
	s_delay_alu instid0(VALU_DEP_1) | instskip(SKIP_1) | instid1(VALU_DEP_1)
	v_cmp_eq_u32_e32 vcc_lo, 0, v160
	v_and_b32_e32 v18, 7, v98
	v_clz_i32_u32_e32 v23, v18
	s_delay_alu instid0(VALU_DEP_1) | instskip(NEXT) | instid1(VALU_DEP_1)
	v_min_u32_e32 v23, 32, v23
	v_subrev_nc_u32_e32 v99, 28, v23
	v_sub_nc_u32_e32 v23, 29, v23
	s_delay_alu instid0(VALU_DEP_2) | instskip(NEXT) | instid1(VALU_DEP_2)
	v_lshlrev_b32_e32 v99, v99, v98
	v_cndmask_b32_e32 v23, v160, v23, vcc_lo
	s_delay_alu instid0(VALU_DEP_2) | instskip(SKIP_1) | instid1(VALU_DEP_3)
	v_and_b32_e32 v99, 7, v99
	v_lshlrev_b32_e32 v161, 24, v98
	v_lshl_add_u32 v23, v23, 23, 0x3b800000
	s_delay_alu instid0(VALU_DEP_2) | instskip(NEXT) | instid1(VALU_DEP_1)
	v_dual_cndmask_b32 v18, v18, v99 :: v_dual_and_b32 v99, 0x80000000, v161
	v_lshlrev_b32_e32 v18, 20, v18
	s_delay_alu instid0(VALU_DEP_1)
	v_or3_b32 v18, v99, v23, v18
.LBB4_156:                              ;   in Loop: Header=BB4_130 Depth=3
	s_or_b32 exec_lo, exec_lo, s9
	s_delay_alu instid0(VALU_DEP_1) | instskip(NEXT) | instid1(VALU_DEP_1)
	v_add_f32_e32 v21, v21, v18
	v_and_b32_e32 v18, 0x7f800000, v21
	s_delay_alu instid0(VALU_DEP_1)
	v_cmp_ne_u32_e32 vcc_lo, 0x7f800000, v18
	v_mov_b32_e32 v18, 0x80
	s_and_saveexec_b32 s9, vcc_lo
	s_cbranch_execz .LBB4_164
; %bb.157:                              ;   in Loop: Header=BB4_130 Depth=3
	v_mov_b32_e32 v18, 0
	s_mov_b32 s20, exec_lo
	v_cmpx_ne_u32_e32 0, v21
	s_cbranch_execz .LBB4_163
; %bb.158:                              ;   in Loop: Header=BB4_130 Depth=3
	v_bfe_u32 v18, v21, 23, 8
	v_and_b32_e32 v23, 0x7fffff, v21
	s_delay_alu instid0(VALU_DEP_2) | instskip(SKIP_1) | instid1(VALU_DEP_3)
	v_sub_nc_u32_e32 v99, 0x78, v18
	v_cmp_gt_u32_e32 vcc_lo, 0x79, v18
	v_or_b32_e32 v160, 0x800000, v23
	s_delay_alu instid0(VALU_DEP_3) | instskip(SKIP_2) | instid1(VALU_DEP_3)
	v_cndmask_b32_e32 v99, 0, v99, vcc_lo
	v_cmp_eq_u32_e32 vcc_lo, 0, v18
	v_add_nc_u32_e32 v18, 0xffffff89, v18
	v_cndmask_b32_e64 v99, v99, 0x77, vcc_lo
	v_cndmask_b32_e32 v23, v160, v23, vcc_lo
	s_delay_alu instid0(VALU_DEP_3) | instskip(NEXT) | instid1(VALU_DEP_3)
	v_cndmask_b32_e64 v18, v18, 0xffffff8a, vcc_lo
	v_lshl_add_u32 v160, 0x100000, v99, -1
	s_delay_alu instid0(VALU_DEP_3) | instskip(SKIP_1) | instid1(VALU_DEP_4)
	v_lshrrev_b32_e32 v161, v99, v23
	v_lshlrev_b32_e64 v163, v99, 0x80000
	v_add_nc_u32_e32 v99, v99, v18
	s_delay_alu instid0(VALU_DEP_4) | instskip(NEXT) | instid1(VALU_DEP_4)
	v_and_b32_e32 v23, v160, v23
	v_bfe_u32 v162, v161, 20, 1
	s_delay_alu instid0(VALU_DEP_2) | instskip(NEXT) | instid1(VALU_DEP_2)
	v_cmp_eq_u32_e64 s8, v23, v163
	v_add_nc_u32_e32 v160, -1, v162
	s_delay_alu instid0(VALU_DEP_1) | instskip(SKIP_2) | instid1(VALU_DEP_2)
	v_cndmask_b32_e64 v23, 0, v160, s8
	v_lshrrev_b32_e32 v160, 23, v161
	s_mov_b32 s8, exec_lo
	v_add_nc_u32_e32 v23, v23, v161
	s_delay_alu instid0(VALU_DEP_2) | instskip(NEXT) | instid1(VALU_DEP_2)
	v_xor_b32_e32 v160, 1, v160
	v_and_b32_e32 v18, 0xfffff, v23
	s_delay_alu instid0(VALU_DEP_1) | instskip(NEXT) | instid1(VALU_DEP_3)
	v_add_nc_u32_e32 v23, v18, v161
                                        ; implicit-def: $vgpr18
	v_cmpx_ne_u32_e64 v99, v160
	s_xor_b32 s8, exec_lo, s8
; %bb.159:                              ;   in Loop: Header=BB4_130 Depth=3
	s_delay_alu instid0(VALU_DEP_2) | instskip(SKIP_2) | instid1(VALU_DEP_2)
	v_cmp_lt_u32_e32 vcc_lo, 0xffffff, v23
	v_sub_nc_u32_e32 v18, v99, v160
	v_cndmask_b32_e64 v99, 0, 1, vcc_lo
	v_add_co_ci_u32_e32 v18, vcc_lo, 0, v18, vcc_lo
	s_delay_alu instid0(VALU_DEP_2)
	v_lshrrev_b32_e32 v23, v99, v23
; %bb.160:                              ;   in Loop: Header=BB4_130 Depth=3
	s_and_not1_saveexec_b32 s8, s8
; %bb.161:                              ;   in Loop: Header=BB4_130 Depth=3
	s_delay_alu instid0(VALU_DEP_1)
	v_bfe_u32 v18, v23, 23, 1
; %bb.162:                              ;   in Loop: Header=BB4_130 Depth=3
	s_or_b32 exec_lo, exec_lo, s8
	v_lshrrev_b32_e32 v23, 20, v23
	s_delay_alu instid0(VALU_DEP_2) | instskip(SKIP_2) | instid1(VALU_DEP_4)
	v_cmp_gt_i32_e32 vcc_lo, 16, v18
	v_lshrrev_b32_e32 v21, 24, v21
	v_min_i32_e32 v99, 15, v18
	v_cndmask_b32_e32 v23, 7, v23, vcc_lo
	s_delay_alu instid0(VALU_DEP_3) | instskip(NEXT) | instid1(VALU_DEP_3)
	v_and_b32_e32 v21, 0x80, v21
	v_lshlrev_b32_e32 v99, 3, v99
	s_delay_alu instid0(VALU_DEP_3) | instskip(SKIP_1) | instid1(VALU_DEP_2)
	v_and_b32_e32 v160, 7, v23
	v_or_b32_e32 v18, v18, v23
	v_or3_b32 v21, v99, v21, v160
	s_delay_alu instid0(VALU_DEP_2) | instskip(NEXT) | instid1(VALU_DEP_2)
	v_cmp_ne_u32_e32 vcc_lo, 0, v18
	v_cndmask_b32_e32 v18, 0, v21, vcc_lo
.LBB4_163:                              ;   in Loop: Header=BB4_130 Depth=3
	s_or_b32 exec_lo, exec_lo, s20
.LBB4_164:                              ;   in Loop: Header=BB4_130 Depth=3
	s_delay_alu instid0(SALU_CYCLE_1) | instskip(SKIP_3) | instid1(VALU_DEP_1)
	s_or_b32 exec_lo, exec_lo, s9
	v_lshrrev_b16 v23, 8, v20
	s_mov_b32 s8, 0
	s_mov_b32 s20, exec_lo
                                        ; implicit-def: $sgpr9
	v_cmpx_lt_i16_e32 0x7f, v23
	s_xor_b32 s20, exec_lo, s20
	s_cbranch_execnz .LBB4_282
; %bb.165:                              ;   in Loop: Header=BB4_130 Depth=3
	s_or_saveexec_b32 s20, s20
	v_mov_b32_e32 v21, s9
	s_xor_b32 exec_lo, exec_lo, s20
	s_cbranch_execnz .LBB4_285
.LBB4_166:                              ;   in Loop: Header=BB4_130 Depth=3
	s_or_b32 exec_lo, exec_lo, s20
	s_and_saveexec_b32 s9, s8
	s_cbranch_execz .LBB4_168
.LBB4_167:                              ;   in Loop: Header=BB4_130 Depth=3
	v_and_b32_e32 v21, 0xffff, v23
	v_lshlrev_b32_e32 v23, 24, v23
	s_delay_alu instid0(VALU_DEP_2) | instskip(NEXT) | instid1(VALU_DEP_2)
	v_and_b32_e32 v99, 7, v21
	v_and_b32_e32 v23, 0x80000000, v23
	s_delay_alu instid0(VALU_DEP_2) | instskip(NEXT) | instid1(VALU_DEP_1)
	v_clz_i32_u32_e32 v160, v99
	v_min_u32_e32 v160, 32, v160
	s_delay_alu instid0(VALU_DEP_1) | instskip(SKIP_1) | instid1(VALU_DEP_2)
	v_subrev_nc_u32_e32 v161, 28, v160
	v_sub_nc_u32_e32 v160, 29, v160
	v_lshlrev_b32_e32 v161, v161, v21
	v_bfe_u32 v21, v21, 3, 4
	s_delay_alu instid0(VALU_DEP_2) | instskip(NEXT) | instid1(VALU_DEP_2)
	v_and_b32_e32 v161, 7, v161
	v_cmp_eq_u32_e32 vcc_lo, 0, v21
	v_cndmask_b32_e32 v21, v21, v160, vcc_lo
	s_delay_alu instid0(VALU_DEP_3) | instskip(NEXT) | instid1(VALU_DEP_2)
	v_cndmask_b32_e32 v99, v99, v161, vcc_lo
	v_lshl_add_u32 v21, v21, 23, 0x3b800000
	s_delay_alu instid0(VALU_DEP_2) | instskip(NEXT) | instid1(VALU_DEP_1)
	v_lshlrev_b32_e32 v99, 20, v99
	v_or3_b32 v21, v23, v21, v99
.LBB4_168:                              ;   in Loop: Header=BB4_130 Depth=3
	s_or_b32 exec_lo, exec_lo, s9
	v_lshrrev_b16 v23, 8, v98
	s_mov_b32 s8, 0
	s_mov_b32 s20, exec_lo
                                        ; implicit-def: $sgpr9
	s_delay_alu instid0(VALU_DEP_1)
	v_cmpx_lt_i16_e32 0x7f, v23
	s_xor_b32 s20, exec_lo, s20
	s_cbranch_execnz .LBB4_286
; %bb.169:                              ;   in Loop: Header=BB4_130 Depth=3
	s_or_saveexec_b32 s20, s20
	v_mov_b32_e32 v99, s9
	s_xor_b32 exec_lo, exec_lo, s20
	s_cbranch_execnz .LBB4_289
.LBB4_170:                              ;   in Loop: Header=BB4_130 Depth=3
	s_or_b32 exec_lo, exec_lo, s20
	s_and_saveexec_b32 s9, s8
	s_cbranch_execz .LBB4_172
.LBB4_171:                              ;   in Loop: Header=BB4_130 Depth=3
	v_and_b32_e32 v99, 0xffff, v23
	v_lshlrev_b32_e32 v23, 24, v23
	s_delay_alu instid0(VALU_DEP_2) | instskip(NEXT) | instid1(VALU_DEP_2)
	v_and_b32_e32 v160, 7, v99
	v_and_b32_e32 v23, 0x80000000, v23
	s_delay_alu instid0(VALU_DEP_2) | instskip(NEXT) | instid1(VALU_DEP_1)
	v_clz_i32_u32_e32 v161, v160
	v_min_u32_e32 v161, 32, v161
	s_delay_alu instid0(VALU_DEP_1) | instskip(SKIP_1) | instid1(VALU_DEP_2)
	v_subrev_nc_u32_e32 v162, 28, v161
	v_sub_nc_u32_e32 v161, 29, v161
	v_lshlrev_b32_e32 v162, v162, v99
	v_bfe_u32 v99, v99, 3, 4
	s_delay_alu instid0(VALU_DEP_2) | instskip(NEXT) | instid1(VALU_DEP_2)
	v_and_b32_e32 v162, 7, v162
	v_cmp_eq_u32_e32 vcc_lo, 0, v99
	s_delay_alu instid0(VALU_DEP_2) | instskip(NEXT) | instid1(VALU_DEP_1)
	v_dual_cndmask_b32 v99, v99, v161 :: v_dual_cndmask_b32 v160, v160, v162
	v_lshl_add_u32 v99, v99, 23, 0x3b800000
	s_delay_alu instid0(VALU_DEP_2) | instskip(NEXT) | instid1(VALU_DEP_1)
	v_lshlrev_b32_e32 v160, 20, v160
	v_or3_b32 v99, v23, v99, v160
.LBB4_172:                              ;   in Loop: Header=BB4_130 Depth=3
	s_or_b32 exec_lo, exec_lo, s9
	s_delay_alu instid0(VALU_DEP_1) | instskip(NEXT) | instid1(VALU_DEP_1)
	v_add_f32_e32 v23, v21, v99
	v_and_b32_e32 v21, 0x7f800000, v23
	s_delay_alu instid0(VALU_DEP_1)
	v_cmp_ne_u32_e32 vcc_lo, 0x7f800000, v21
	v_mov_b32_e32 v21, 0x80
	s_and_saveexec_b32 s9, vcc_lo
	s_cbranch_execz .LBB4_180
; %bb.173:                              ;   in Loop: Header=BB4_130 Depth=3
	v_mov_b32_e32 v21, 0
	s_mov_b32 s20, exec_lo
	v_cmpx_ne_u32_e32 0, v23
	s_cbranch_execz .LBB4_179
; %bb.174:                              ;   in Loop: Header=BB4_130 Depth=3
	v_bfe_u32 v21, v23, 23, 8
	s_delay_alu instid0(VALU_DEP_1) | instskip(SKIP_1) | instid1(VALU_DEP_2)
	v_sub_nc_u32_e32 v160, 0x78, v21
	v_cmp_gt_u32_e32 vcc_lo, 0x79, v21
	v_dual_cndmask_b32 v160, 0, v160 :: v_dual_and_b32 v99, 0x7fffff, v23
	s_delay_alu instid0(VALU_DEP_1) | instskip(SKIP_2) | instid1(VALU_DEP_4)
	v_or_b32_e32 v161, 0x800000, v99
	v_cmp_eq_u32_e32 vcc_lo, 0, v21
	v_add_nc_u32_e32 v21, 0xffffff89, v21
	v_cndmask_b32_e64 v160, v160, 0x77, vcc_lo
	s_delay_alu instid0(VALU_DEP_2) | instskip(SKIP_1) | instid1(VALU_DEP_3)
	v_cndmask_b32_e64 v21, v21, 0xffffff8a, vcc_lo
	v_cndmask_b32_e32 v99, v161, v99, vcc_lo
	v_lshl_add_u32 v161, 0x100000, v160, -1
	v_lshlrev_b32_e64 v164, v160, 0x80000
	s_delay_alu instid0(VALU_DEP_3) | instskip(SKIP_1) | instid1(VALU_DEP_4)
	v_lshrrev_b32_e32 v162, v160, v99
	v_add_nc_u32_e32 v160, v160, v21
	v_and_b32_e32 v99, v161, v99
	s_delay_alu instid0(VALU_DEP_3) | instskip(NEXT) | instid1(VALU_DEP_2)
	v_bfe_u32 v163, v162, 20, 1
	v_cmp_eq_u32_e64 s8, v99, v164
	s_delay_alu instid0(VALU_DEP_2) | instskip(NEXT) | instid1(VALU_DEP_1)
	v_add_nc_u32_e32 v161, -1, v163
	v_cndmask_b32_e64 v99, 0, v161, s8
	v_lshrrev_b32_e32 v161, 23, v162
	s_mov_b32 s8, exec_lo
	s_delay_alu instid0(VALU_DEP_2) | instskip(NEXT) | instid1(VALU_DEP_2)
	v_add_nc_u32_e32 v99, v99, v162
	v_xor_b32_e32 v161, 1, v161
	s_delay_alu instid0(VALU_DEP_2) | instskip(NEXT) | instid1(VALU_DEP_1)
	v_and_b32_e32 v21, 0xfffff, v99
	v_add_nc_u32_e32 v99, v21, v162
                                        ; implicit-def: $vgpr21
	s_delay_alu instid0(VALU_DEP_3)
	v_cmpx_ne_u32_e64 v160, v161
	s_xor_b32 s8, exec_lo, s8
; %bb.175:                              ;   in Loop: Header=BB4_130 Depth=3
	s_delay_alu instid0(VALU_DEP_2) | instskip(SKIP_2) | instid1(VALU_DEP_2)
	v_cmp_lt_u32_e32 vcc_lo, 0xffffff, v99
	v_sub_nc_u32_e32 v21, v160, v161
	v_cndmask_b32_e64 v160, 0, 1, vcc_lo
	v_add_co_ci_u32_e32 v21, vcc_lo, 0, v21, vcc_lo
	s_delay_alu instid0(VALU_DEP_2)
	v_lshrrev_b32_e32 v99, v160, v99
; %bb.176:                              ;   in Loop: Header=BB4_130 Depth=3
	s_and_not1_saveexec_b32 s8, s8
; %bb.177:                              ;   in Loop: Header=BB4_130 Depth=3
	s_delay_alu instid0(VALU_DEP_1)
	v_bfe_u32 v21, v99, 23, 1
; %bb.178:                              ;   in Loop: Header=BB4_130 Depth=3
	s_or_b32 exec_lo, exec_lo, s8
	v_lshrrev_b32_e32 v99, 20, v99
	s_delay_alu instid0(VALU_DEP_2) | instskip(SKIP_2) | instid1(VALU_DEP_4)
	v_cmp_gt_i32_e32 vcc_lo, 16, v21
	v_lshrrev_b32_e32 v23, 24, v23
	v_min_i32_e32 v160, 15, v21
	v_cndmask_b32_e32 v99, 7, v99, vcc_lo
	s_delay_alu instid0(VALU_DEP_3) | instskip(NEXT) | instid1(VALU_DEP_3)
	v_and_b32_e32 v23, 0x80, v23
	v_lshlrev_b32_e32 v160, 3, v160
	s_delay_alu instid0(VALU_DEP_3) | instskip(SKIP_1) | instid1(VALU_DEP_2)
	v_and_b32_e32 v161, 7, v99
	v_or_b32_e32 v21, v21, v99
	v_or3_b32 v23, v160, v23, v161
	s_delay_alu instid0(VALU_DEP_2) | instskip(NEXT) | instid1(VALU_DEP_2)
	v_cmp_ne_u32_e32 vcc_lo, 0, v21
	v_cndmask_b32_e32 v21, 0, v23, vcc_lo
.LBB4_179:                              ;   in Loop: Header=BB4_130 Depth=3
	s_or_b32 exec_lo, exec_lo, s20
.LBB4_180:                              ;   in Loop: Header=BB4_130 Depth=3
	s_delay_alu instid0(SALU_CYCLE_1) | instskip(SKIP_3) | instid1(VALU_DEP_1)
	s_or_b32 exec_lo, exec_lo, s9
	v_lshrrev_b32_e32 v99, 16, v20
	s_mov_b32 s8, 0
	s_mov_b32 s20, exec_lo
                                        ; implicit-def: $sgpr9
	v_and_b32_e32 v160, 0xff, v99
	s_delay_alu instid0(VALU_DEP_1)
	v_cmpx_lt_i16_e64 0x7f, v160
	s_xor_b32 s20, exec_lo, s20
	s_cbranch_execnz .LBB4_290
; %bb.181:                              ;   in Loop: Header=BB4_130 Depth=3
	s_or_saveexec_b32 s20, s20
	v_mov_b32_e32 v23, s9
	s_xor_b32 exec_lo, exec_lo, s20
	s_cbranch_execnz .LBB4_293
.LBB4_182:                              ;   in Loop: Header=BB4_130 Depth=3
	s_or_b32 exec_lo, exec_lo, s20
	s_and_saveexec_b32 s9, s8
	s_cbranch_execz .LBB4_184
.LBB4_183:                              ;   in Loop: Header=BB4_130 Depth=3
	v_bfe_u32 v23, v20, 16, 3
	s_delay_alu instid0(VALU_DEP_1) | instskip(NEXT) | instid1(VALU_DEP_1)
	v_clz_i32_u32_e32 v160, v23
	v_min_u32_e32 v160, 32, v160
	s_delay_alu instid0(VALU_DEP_1) | instskip(SKIP_1) | instid1(VALU_DEP_2)
	v_subrev_nc_u32_e32 v161, 28, v160
	v_sub_nc_u32_e32 v160, 29, v160
	v_lshlrev_b32_e32 v99, v161, v99
	v_bfe_u32 v161, v20, 19, 4
	s_delay_alu instid0(VALU_DEP_1) | instskip(NEXT) | instid1(VALU_DEP_3)
	v_cmp_eq_u32_e32 vcc_lo, 0, v161
	v_dual_cndmask_b32 v160, v161, v160 :: v_dual_and_b32 v99, 7, v99
	s_delay_alu instid0(VALU_DEP_1) | instskip(NEXT) | instid1(VALU_DEP_2)
	v_dual_cndmask_b32 v23, v23, v99 :: v_dual_lshlrev_b32 v162, 8, v20
	v_lshl_add_u32 v160, v160, 23, 0x3b800000
	s_delay_alu instid0(VALU_DEP_2) | instskip(NEXT) | instid1(VALU_DEP_3)
	v_and_b32_e32 v99, 0x80000000, v162
	v_lshlrev_b32_e32 v23, 20, v23
	s_delay_alu instid0(VALU_DEP_1)
	v_or3_b32 v23, v99, v160, v23
.LBB4_184:                              ;   in Loop: Header=BB4_130 Depth=3
	s_or_b32 exec_lo, exec_lo, s9
	v_lshrrev_b32_e32 v99, 16, v98
	s_mov_b32 s8, 0
	s_mov_b32 s20, exec_lo
                                        ; implicit-def: $sgpr9
	s_delay_alu instid0(VALU_DEP_1) | instskip(NEXT) | instid1(VALU_DEP_1)
	v_and_b32_e32 v161, 0xff, v99
	v_cmpx_lt_i16_e64 0x7f, v161
	s_xor_b32 s20, exec_lo, s20
	s_cbranch_execnz .LBB4_294
; %bb.185:                              ;   in Loop: Header=BB4_130 Depth=3
	s_or_saveexec_b32 s20, s20
	v_mov_b32_e32 v160, s9
	s_xor_b32 exec_lo, exec_lo, s20
	s_cbranch_execnz .LBB4_297
.LBB4_186:                              ;   in Loop: Header=BB4_130 Depth=3
	s_or_b32 exec_lo, exec_lo, s20
	s_and_saveexec_b32 s9, s8
	s_cbranch_execz .LBB4_188
.LBB4_187:                              ;   in Loop: Header=BB4_130 Depth=3
	v_bfe_u32 v160, v98, 16, 3
	v_lshlrev_b32_e32 v163, 8, v98
	s_delay_alu instid0(VALU_DEP_2) | instskip(NEXT) | instid1(VALU_DEP_1)
	v_clz_i32_u32_e32 v161, v160
	v_min_u32_e32 v161, 32, v161
	s_delay_alu instid0(VALU_DEP_1) | instskip(SKIP_1) | instid1(VALU_DEP_2)
	v_subrev_nc_u32_e32 v162, 28, v161
	v_sub_nc_u32_e32 v161, 29, v161
	v_lshlrev_b32_e32 v99, v162, v99
	v_bfe_u32 v162, v98, 19, 4
	s_delay_alu instid0(VALU_DEP_2) | instskip(NEXT) | instid1(VALU_DEP_2)
	v_and_b32_e32 v99, 7, v99
	v_cmp_eq_u32_e32 vcc_lo, 0, v162
	v_cndmask_b32_e32 v161, v162, v161, vcc_lo
	s_delay_alu instid0(VALU_DEP_3) | instskip(SKIP_1) | instid1(VALU_DEP_3)
	v_cndmask_b32_e32 v99, v160, v99, vcc_lo
	v_and_b32_e32 v160, 0x80000000, v163
	v_lshl_add_u32 v161, v161, 23, 0x3b800000
	s_delay_alu instid0(VALU_DEP_3) | instskip(NEXT) | instid1(VALU_DEP_1)
	v_lshlrev_b32_e32 v99, 20, v99
	v_or3_b32 v160, v160, v161, v99
.LBB4_188:                              ;   in Loop: Header=BB4_130 Depth=3
	s_or_b32 exec_lo, exec_lo, s9
	s_delay_alu instid0(VALU_DEP_1) | instskip(NEXT) | instid1(VALU_DEP_1)
	v_add_f32_e32 v99, v23, v160
	v_and_b32_e32 v23, 0x7f800000, v99
	s_delay_alu instid0(VALU_DEP_1)
	v_cmp_ne_u32_e32 vcc_lo, 0x7f800000, v23
	v_mov_b32_e32 v23, 0x80
	s_and_saveexec_b32 s9, vcc_lo
	s_cbranch_execz .LBB4_196
; %bb.189:                              ;   in Loop: Header=BB4_130 Depth=3
	v_mov_b32_e32 v23, 0
	s_mov_b32 s20, exec_lo
	v_cmpx_ne_u32_e32 0, v99
	s_cbranch_execz .LBB4_195
; %bb.190:                              ;   in Loop: Header=BB4_130 Depth=3
	v_bfe_u32 v23, v99, 23, 8
	s_delay_alu instid0(VALU_DEP_1) | instskip(SKIP_1) | instid1(VALU_DEP_2)
	v_sub_nc_u32_e32 v161, 0x78, v23
	v_cmp_gt_u32_e32 vcc_lo, 0x79, v23
	v_dual_cndmask_b32 v161, 0, v161 :: v_dual_and_b32 v160, 0x7fffff, v99
	s_delay_alu instid0(VALU_DEP_1) | instskip(SKIP_2) | instid1(VALU_DEP_4)
	v_or_b32_e32 v162, 0x800000, v160
	v_cmp_eq_u32_e32 vcc_lo, 0, v23
	v_add_nc_u32_e32 v23, 0xffffff89, v23
	v_cndmask_b32_e64 v161, v161, 0x77, vcc_lo
	s_delay_alu instid0(VALU_DEP_4) | instskip(NEXT) | instid1(VALU_DEP_3)
	v_cndmask_b32_e32 v160, v162, v160, vcc_lo
	v_cndmask_b32_e64 v23, v23, 0xffffff8a, vcc_lo
	s_delay_alu instid0(VALU_DEP_3) | instskip(NEXT) | instid1(VALU_DEP_3)
	v_lshl_add_u32 v162, 0x100000, v161, -1
	v_lshrrev_b32_e32 v163, v161, v160
	v_lshlrev_b32_e64 v165, v161, 0x80000
	s_delay_alu instid0(VALU_DEP_4) | instskip(NEXT) | instid1(VALU_DEP_4)
	v_add_nc_u32_e32 v161, v161, v23
	v_and_b32_e32 v160, v162, v160
	s_delay_alu instid0(VALU_DEP_4) | instskip(NEXT) | instid1(VALU_DEP_2)
	v_bfe_u32 v164, v163, 20, 1
	v_cmp_eq_u32_e64 s8, v160, v165
	s_delay_alu instid0(VALU_DEP_2) | instskip(NEXT) | instid1(VALU_DEP_1)
	v_add_nc_u32_e32 v162, -1, v164
	v_cndmask_b32_e64 v160, 0, v162, s8
	v_lshrrev_b32_e32 v162, 23, v163
	s_mov_b32 s8, exec_lo
	s_delay_alu instid0(VALU_DEP_2) | instskip(NEXT) | instid1(VALU_DEP_2)
	v_add_nc_u32_e32 v160, v160, v163
	v_xor_b32_e32 v162, 1, v162
	s_delay_alu instid0(VALU_DEP_2) | instskip(NEXT) | instid1(VALU_DEP_1)
	v_and_b32_e32 v23, 0xfffff, v160
	v_add_nc_u32_e32 v160, v23, v163
                                        ; implicit-def: $vgpr23
	s_delay_alu instid0(VALU_DEP_3)
	v_cmpx_ne_u32_e64 v161, v162
	s_xor_b32 s8, exec_lo, s8
; %bb.191:                              ;   in Loop: Header=BB4_130 Depth=3
	s_delay_alu instid0(VALU_DEP_2) | instskip(SKIP_2) | instid1(VALU_DEP_2)
	v_cmp_lt_u32_e32 vcc_lo, 0xffffff, v160
	v_sub_nc_u32_e32 v23, v161, v162
	v_cndmask_b32_e64 v161, 0, 1, vcc_lo
	v_add_co_ci_u32_e32 v23, vcc_lo, 0, v23, vcc_lo
	s_delay_alu instid0(VALU_DEP_2)
	v_lshrrev_b32_e32 v160, v161, v160
; %bb.192:                              ;   in Loop: Header=BB4_130 Depth=3
	s_and_not1_saveexec_b32 s8, s8
; %bb.193:                              ;   in Loop: Header=BB4_130 Depth=3
	s_delay_alu instid0(VALU_DEP_1)
	v_bfe_u32 v23, v160, 23, 1
; %bb.194:                              ;   in Loop: Header=BB4_130 Depth=3
	s_or_b32 exec_lo, exec_lo, s8
	v_lshrrev_b32_e32 v160, 20, v160
	s_delay_alu instid0(VALU_DEP_2) | instskip(SKIP_2) | instid1(VALU_DEP_2)
	v_cmp_gt_i32_e32 vcc_lo, 16, v23
	v_lshrrev_b32_e32 v99, 24, v99
	v_min_i32_e32 v161, 15, v23
	v_dual_cndmask_b32 v160, 7, v160 :: v_dual_and_b32 v99, 0x80, v99
	s_delay_alu instid0(VALU_DEP_2) | instskip(NEXT) | instid1(VALU_DEP_2)
	v_lshlrev_b32_e32 v161, 3, v161
	v_or_b32_e32 v23, v23, v160
	s_delay_alu instid0(VALU_DEP_1) | instskip(SKIP_1) | instid1(VALU_DEP_1)
	v_cmp_ne_u32_e32 vcc_lo, 0, v23
	v_and_b32_e32 v162, 7, v160
	v_or3_b32 v99, v161, v99, v162
	s_delay_alu instid0(VALU_DEP_1)
	v_cndmask_b32_e32 v23, 0, v99, vcc_lo
.LBB4_195:                              ;   in Loop: Header=BB4_130 Depth=3
	s_or_b32 exec_lo, exec_lo, s20
.LBB4_196:                              ;   in Loop: Header=BB4_130 Depth=3
	s_delay_alu instid0(SALU_CYCLE_1) | instskip(SKIP_3) | instid1(VALU_DEP_1)
	s_or_b32 exec_lo, exec_lo, s9
	v_lshrrev_b32_e32 v160, 24, v20
	s_mov_b32 s8, 0
	s_mov_b32 s20, exec_lo
                                        ; implicit-def: $sgpr9
	v_cmpx_lt_i16_e64 0x7f, v160
	s_xor_b32 s20, exec_lo, s20
	s_cbranch_execnz .LBB4_298
; %bb.197:                              ;   in Loop: Header=BB4_130 Depth=3
	s_or_saveexec_b32 s20, s20
	v_mov_b32_e32 v99, s9
	s_xor_b32 exec_lo, exec_lo, s20
	s_cbranch_execnz .LBB4_301
.LBB4_198:                              ;   in Loop: Header=BB4_130 Depth=3
	s_or_b32 exec_lo, exec_lo, s20
	s_and_saveexec_b32 s9, s8
	s_cbranch_execz .LBB4_200
.LBB4_199:                              ;   in Loop: Header=BB4_130 Depth=3
	v_bfe_u32 v99, v20, 24, 3
	s_delay_alu instid0(VALU_DEP_1) | instskip(NEXT) | instid1(VALU_DEP_1)
	v_clz_i32_u32_e32 v161, v99
	v_min_u32_e32 v161, 32, v161
	s_delay_alu instid0(VALU_DEP_1) | instskip(SKIP_1) | instid1(VALU_DEP_2)
	v_subrev_nc_u32_e32 v162, 28, v161
	v_sub_nc_u32_e32 v161, 29, v161
	v_lshlrev_b32_e32 v160, v162, v160
	v_bfe_u32 v162, v20, 27, 4
	v_and_b32_e32 v20, 0x80000000, v20
	s_delay_alu instid0(VALU_DEP_2) | instskip(NEXT) | instid1(VALU_DEP_4)
	v_cmp_eq_u32_e32 vcc_lo, 0, v162
	v_dual_cndmask_b32 v161, v162, v161 :: v_dual_and_b32 v160, 7, v160
	s_delay_alu instid0(VALU_DEP_1) | instskip(NEXT) | instid1(VALU_DEP_2)
	v_cndmask_b32_e32 v99, v99, v160, vcc_lo
	v_lshl_add_u32 v160, v161, 23, 0x3b800000
	s_delay_alu instid0(VALU_DEP_2) | instskip(NEXT) | instid1(VALU_DEP_1)
	v_lshlrev_b32_e32 v99, 20, v99
	v_or3_b32 v99, v20, v160, v99
.LBB4_200:                              ;   in Loop: Header=BB4_130 Depth=3
	s_or_b32 exec_lo, exec_lo, s9
	v_lshrrev_b32_e32 v20, 24, v98
	s_mov_b32 s8, 0
	s_mov_b32 s20, exec_lo
                                        ; implicit-def: $sgpr9
	s_delay_alu instid0(VALU_DEP_1)
	v_cmpx_lt_i16_e32 0x7f, v20
	s_xor_b32 s20, exec_lo, s20
	s_cbranch_execnz .LBB4_302
; %bb.201:                              ;   in Loop: Header=BB4_130 Depth=3
	s_or_saveexec_b32 s20, s20
	v_mov_b32_e32 v160, s9
	s_xor_b32 exec_lo, exec_lo, s20
	s_cbranch_execnz .LBB4_305
.LBB4_202:                              ;   in Loop: Header=BB4_130 Depth=3
	s_or_b32 exec_lo, exec_lo, s20
	s_and_saveexec_b32 s9, s8
	s_cbranch_execz .LBB4_204
.LBB4_203:                              ;   in Loop: Header=BB4_130 Depth=3
	v_bfe_u32 v160, v98, 24, 3
	s_delay_alu instid0(VALU_DEP_1) | instskip(NEXT) | instid1(VALU_DEP_1)
	v_clz_i32_u32_e32 v161, v160
	v_min_u32_e32 v161, 32, v161
	s_delay_alu instid0(VALU_DEP_1) | instskip(SKIP_1) | instid1(VALU_DEP_2)
	v_subrev_nc_u32_e32 v162, 28, v161
	v_sub_nc_u32_e32 v161, 29, v161
	v_lshlrev_b32_e32 v20, v162, v20
	v_bfe_u32 v162, v98, 27, 4
	v_and_b32_e32 v98, 0x80000000, v98
	s_delay_alu instid0(VALU_DEP_2) | instskip(NEXT) | instid1(VALU_DEP_4)
	v_cmp_eq_u32_e32 vcc_lo, 0, v162
	v_dual_cndmask_b32 v161, v162, v161 :: v_dual_and_b32 v20, 7, v20
	s_delay_alu instid0(VALU_DEP_1) | instskip(NEXT) | instid1(VALU_DEP_2)
	v_cndmask_b32_e32 v20, v160, v20, vcc_lo
	v_lshl_add_u32 v160, v161, 23, 0x3b800000
	s_delay_alu instid0(VALU_DEP_2) | instskip(NEXT) | instid1(VALU_DEP_1)
	v_lshlrev_b32_e32 v20, 20, v20
	v_or3_b32 v160, v98, v160, v20
.LBB4_204:                              ;   in Loop: Header=BB4_130 Depth=3
	s_or_b32 exec_lo, exec_lo, s9
	s_delay_alu instid0(VALU_DEP_1) | instskip(NEXT) | instid1(VALU_DEP_1)
	v_add_f32_e32 v98, v99, v160
	v_and_b32_e32 v20, 0x7f800000, v98
	s_delay_alu instid0(VALU_DEP_1)
	v_cmp_ne_u32_e32 vcc_lo, 0x7f800000, v20
	v_mov_b32_e32 v20, 0x80
	s_and_saveexec_b32 s9, vcc_lo
	s_cbranch_execz .LBB4_212
; %bb.205:                              ;   in Loop: Header=BB4_130 Depth=3
	v_mov_b32_e32 v20, 0
	s_mov_b32 s20, exec_lo
	v_cmpx_ne_u32_e32 0, v98
	s_cbranch_execz .LBB4_211
; %bb.206:                              ;   in Loop: Header=BB4_130 Depth=3
	v_bfe_u32 v20, v98, 23, 8
	s_delay_alu instid0(VALU_DEP_1) | instskip(SKIP_1) | instid1(VALU_DEP_2)
	v_sub_nc_u32_e32 v160, 0x78, v20
	v_cmp_gt_u32_e32 vcc_lo, 0x79, v20
	v_dual_cndmask_b32 v160, 0, v160 :: v_dual_and_b32 v99, 0x7fffff, v98
	s_delay_alu instid0(VALU_DEP_1) | instskip(SKIP_2) | instid1(VALU_DEP_4)
	v_or_b32_e32 v161, 0x800000, v99
	v_cmp_eq_u32_e32 vcc_lo, 0, v20
	v_add_nc_u32_e32 v20, 0xffffff89, v20
	v_cndmask_b32_e64 v160, v160, 0x77, vcc_lo
	s_delay_alu instid0(VALU_DEP_4) | instskip(NEXT) | instid1(VALU_DEP_3)
	v_cndmask_b32_e32 v99, v161, v99, vcc_lo
	v_cndmask_b32_e64 v20, v20, 0xffffff8a, vcc_lo
	s_delay_alu instid0(VALU_DEP_3) | instskip(NEXT) | instid1(VALU_DEP_3)
	v_lshl_add_u32 v161, 0x100000, v160, -1
	v_lshrrev_b32_e32 v162, v160, v99
	v_lshlrev_b32_e64 v164, v160, 0x80000
	s_delay_alu instid0(VALU_DEP_4) | instskip(NEXT) | instid1(VALU_DEP_4)
	v_add_nc_u32_e32 v160, v160, v20
	v_and_b32_e32 v99, v161, v99
	s_delay_alu instid0(VALU_DEP_4) | instskip(NEXT) | instid1(VALU_DEP_2)
	v_bfe_u32 v163, v162, 20, 1
	v_cmp_eq_u32_e64 s8, v99, v164
	s_delay_alu instid0(VALU_DEP_2) | instskip(NEXT) | instid1(VALU_DEP_1)
	v_add_nc_u32_e32 v161, -1, v163
	v_cndmask_b32_e64 v99, 0, v161, s8
	v_lshrrev_b32_e32 v161, 23, v162
	s_mov_b32 s8, exec_lo
	s_delay_alu instid0(VALU_DEP_2) | instskip(NEXT) | instid1(VALU_DEP_2)
	v_add_nc_u32_e32 v99, v99, v162
	v_xor_b32_e32 v161, 1, v161
	s_delay_alu instid0(VALU_DEP_2) | instskip(NEXT) | instid1(VALU_DEP_1)
	v_and_b32_e32 v20, 0xfffff, v99
	v_add_nc_u32_e32 v99, v20, v162
                                        ; implicit-def: $vgpr20
	s_delay_alu instid0(VALU_DEP_3)
	v_cmpx_ne_u32_e64 v160, v161
	s_xor_b32 s8, exec_lo, s8
; %bb.207:                              ;   in Loop: Header=BB4_130 Depth=3
	s_delay_alu instid0(VALU_DEP_2) | instskip(SKIP_2) | instid1(VALU_DEP_2)
	v_cmp_lt_u32_e32 vcc_lo, 0xffffff, v99
	v_sub_nc_u32_e32 v20, v160, v161
	v_cndmask_b32_e64 v160, 0, 1, vcc_lo
	v_add_co_ci_u32_e32 v20, vcc_lo, 0, v20, vcc_lo
	s_delay_alu instid0(VALU_DEP_2)
	v_lshrrev_b32_e32 v99, v160, v99
; %bb.208:                              ;   in Loop: Header=BB4_130 Depth=3
	s_and_not1_saveexec_b32 s8, s8
; %bb.209:                              ;   in Loop: Header=BB4_130 Depth=3
	s_delay_alu instid0(VALU_DEP_1)
	v_bfe_u32 v20, v99, 23, 1
; %bb.210:                              ;   in Loop: Header=BB4_130 Depth=3
	s_or_b32 exec_lo, exec_lo, s8
	v_lshrrev_b32_e32 v99, 20, v99
	s_delay_alu instid0(VALU_DEP_2) | instskip(SKIP_2) | instid1(VALU_DEP_2)
	v_cmp_gt_i32_e32 vcc_lo, 16, v20
	v_lshrrev_b32_e32 v98, 24, v98
	v_min_i32_e32 v160, 15, v20
	v_dual_cndmask_b32 v99, 7, v99 :: v_dual_and_b32 v98, 0x80, v98
	s_delay_alu instid0(VALU_DEP_2) | instskip(NEXT) | instid1(VALU_DEP_2)
	v_lshlrev_b32_e32 v160, 3, v160
	v_or_b32_e32 v20, v20, v99
	s_delay_alu instid0(VALU_DEP_1) | instskip(SKIP_1) | instid1(VALU_DEP_1)
	v_cmp_ne_u32_e32 vcc_lo, 0, v20
	v_and_b32_e32 v161, 7, v99
	v_or3_b32 v98, v160, v98, v161
	s_delay_alu instid0(VALU_DEP_1)
	v_cndmask_b32_e32 v20, 0, v98, vcc_lo
.LBB4_211:                              ;   in Loop: Header=BB4_130 Depth=3
	s_or_b32 exec_lo, exec_lo, s20
.LBB4_212:                              ;   in Loop: Header=BB4_130 Depth=3
	s_delay_alu instid0(SALU_CYCLE_1) | instskip(SKIP_3) | instid1(VALU_DEP_1)
	s_or_b32 exec_lo, exec_lo, s9
	v_and_b32_e32 v99, 0xff, v22
	s_mov_b32 s8, 0
	s_mov_b32 s20, exec_lo
                                        ; implicit-def: $sgpr9
	v_cmpx_lt_i16_e32 0x7f, v99
	s_xor_b32 s20, exec_lo, s20
	s_cbranch_execnz .LBB4_306
; %bb.213:                              ;   in Loop: Header=BB4_130 Depth=3
	s_or_saveexec_b32 s20, s20
	v_mov_b32_e32 v98, s9
	s_xor_b32 exec_lo, exec_lo, s20
	s_cbranch_execnz .LBB4_309
.LBB4_214:                              ;   in Loop: Header=BB4_130 Depth=3
	s_or_b32 exec_lo, exec_lo, s20
	s_and_saveexec_b32 s9, s8
	s_cbranch_execz .LBB4_216
.LBB4_215:                              ;   in Loop: Header=BB4_130 Depth=3
	v_bfe_u32 v161, v22, 3, 4
	v_lshlrev_b32_e32 v162, 24, v22
	s_delay_alu instid0(VALU_DEP_2) | instskip(SKIP_1) | instid1(VALU_DEP_1)
	v_cmp_eq_u32_e32 vcc_lo, 0, v161
	v_and_b32_e32 v98, 7, v22
	v_clz_i32_u32_e32 v99, v98
	s_delay_alu instid0(VALU_DEP_1) | instskip(NEXT) | instid1(VALU_DEP_1)
	v_min_u32_e32 v99, 32, v99
	v_subrev_nc_u32_e32 v160, 28, v99
	v_sub_nc_u32_e32 v99, 29, v99
	s_delay_alu instid0(VALU_DEP_1) | instskip(NEXT) | instid1(VALU_DEP_1)
	v_dual_cndmask_b32 v99, v161, v99 :: v_dual_lshlrev_b32 v160, v160, v22
	v_and_b32_e32 v160, 7, v160
	s_delay_alu instid0(VALU_DEP_2) | instskip(NEXT) | instid1(VALU_DEP_2)
	v_lshl_add_u32 v99, v99, 23, 0x3b800000
	v_cndmask_b32_e32 v98, v98, v160, vcc_lo
	v_and_b32_e32 v160, 0x80000000, v162
	s_delay_alu instid0(VALU_DEP_2) | instskip(NEXT) | instid1(VALU_DEP_1)
	v_lshlrev_b32_e32 v98, 20, v98
	v_or3_b32 v98, v160, v99, v98
.LBB4_216:                              ;   in Loop: Header=BB4_130 Depth=3
	s_or_b32 exec_lo, exec_lo, s9
	v_alignbit_b32 v85, v150, v151, v85
	v_mov_b32_e32 v99, v22
	s_mov_b32 s8, 0
	s_mov_b32 s20, exec_lo
                                        ; implicit-def: $sgpr9
	s_delay_alu instid0(VALU_DEP_2) | instskip(NEXT) | instid1(VALU_DEP_1)
	v_and_b32_e32 v151, 0xff, v85
	v_cmpx_lt_i16_e64 0x7f, v151
	s_xor_b32 s20, exec_lo, s20
	s_cbranch_execnz .LBB4_310
; %bb.217:                              ;   in Loop: Header=BB4_130 Depth=3
	s_or_saveexec_b32 s20, s20
	v_mov_b32_e32 v150, s9
	s_xor_b32 exec_lo, exec_lo, s20
	s_cbranch_execnz .LBB4_313
.LBB4_218:                              ;   in Loop: Header=BB4_130 Depth=3
	s_or_b32 exec_lo, exec_lo, s20
	s_and_saveexec_b32 s9, s8
	s_cbranch_execz .LBB4_220
.LBB4_219:                              ;   in Loop: Header=BB4_130 Depth=3
	v_bfe_u32 v161, v85, 3, 4
	v_lshlrev_b32_e32 v162, 24, v85
	s_delay_alu instid0(VALU_DEP_2) | instskip(SKIP_1) | instid1(VALU_DEP_1)
	v_cmp_eq_u32_e32 vcc_lo, 0, v161
	v_and_b32_e32 v150, 7, v85
	v_clz_i32_u32_e32 v151, v150
	s_delay_alu instid0(VALU_DEP_1) | instskip(NEXT) | instid1(VALU_DEP_1)
	v_min_u32_e32 v151, 32, v151
	v_subrev_nc_u32_e32 v160, 28, v151
	v_sub_nc_u32_e32 v151, 29, v151
	s_delay_alu instid0(VALU_DEP_1) | instskip(NEXT) | instid1(VALU_DEP_1)
	v_dual_cndmask_b32 v151, v161, v151 :: v_dual_lshlrev_b32 v160, v160, v85
	v_and_b32_e32 v160, 7, v160
	s_delay_alu instid0(VALU_DEP_2) | instskip(NEXT) | instid1(VALU_DEP_2)
	v_lshl_add_u32 v151, v151, 23, 0x3b800000
	v_cndmask_b32_e32 v150, v150, v160, vcc_lo
	v_and_b32_e32 v160, 0x80000000, v162
	s_delay_alu instid0(VALU_DEP_2) | instskip(NEXT) | instid1(VALU_DEP_1)
	v_lshlrev_b32_e32 v150, 20, v150
	v_or3_b32 v150, v160, v151, v150
.LBB4_220:                              ;   in Loop: Header=BB4_130 Depth=3
	s_or_b32 exec_lo, exec_lo, s9
	s_delay_alu instid0(VALU_DEP_1) | instskip(NEXT) | instid1(VALU_DEP_1)
	v_add_f32_e32 v150, v98, v150
	v_and_b32_e32 v98, 0x7f800000, v150
	s_delay_alu instid0(VALU_DEP_1)
	v_cmp_ne_u32_e32 vcc_lo, 0x7f800000, v98
	v_mov_b32_e32 v98, 0x80
	s_and_saveexec_b32 s9, vcc_lo
	s_cbranch_execz .LBB4_228
; %bb.221:                              ;   in Loop: Header=BB4_130 Depth=3
	v_mov_b32_e32 v98, 0
	s_mov_b32 s20, exec_lo
	v_cmpx_ne_u32_e32 0, v150
	s_cbranch_execz .LBB4_227
; %bb.222:                              ;   in Loop: Header=BB4_130 Depth=3
	v_bfe_u32 v98, v150, 23, 8
	s_delay_alu instid0(VALU_DEP_1) | instskip(SKIP_1) | instid1(VALU_DEP_2)
	v_sub_nc_u32_e32 v160, 0x78, v98
	v_cmp_gt_u32_e32 vcc_lo, 0x79, v98
	v_dual_cndmask_b32 v160, 0, v160 :: v_dual_and_b32 v151, 0x7fffff, v150
	s_delay_alu instid0(VALU_DEP_1) | instskip(SKIP_2) | instid1(VALU_DEP_4)
	v_or_b32_e32 v161, 0x800000, v151
	v_cmp_eq_u32_e32 vcc_lo, 0, v98
	v_add_nc_u32_e32 v98, 0xffffff89, v98
	v_cndmask_b32_e64 v160, v160, 0x77, vcc_lo
	s_delay_alu instid0(VALU_DEP_4) | instskip(NEXT) | instid1(VALU_DEP_3)
	v_cndmask_b32_e32 v151, v161, v151, vcc_lo
	v_cndmask_b32_e64 v98, v98, 0xffffff8a, vcc_lo
	s_delay_alu instid0(VALU_DEP_3) | instskip(NEXT) | instid1(VALU_DEP_3)
	v_lshl_add_u32 v161, 0x100000, v160, -1
	v_lshrrev_b32_e32 v162, v160, v151
	v_lshlrev_b32_e64 v164, v160, 0x80000
	s_delay_alu instid0(VALU_DEP_4) | instskip(NEXT) | instid1(VALU_DEP_4)
	v_add_nc_u32_e32 v160, v160, v98
	v_and_b32_e32 v151, v161, v151
	s_delay_alu instid0(VALU_DEP_4) | instskip(NEXT) | instid1(VALU_DEP_2)
	v_bfe_u32 v163, v162, 20, 1
	v_cmp_eq_u32_e64 s8, v151, v164
	s_delay_alu instid0(VALU_DEP_2) | instskip(NEXT) | instid1(VALU_DEP_1)
	v_add_nc_u32_e32 v161, -1, v163
	v_cndmask_b32_e64 v151, 0, v161, s8
	v_lshrrev_b32_e32 v161, 23, v162
	s_mov_b32 s8, exec_lo
	s_delay_alu instid0(VALU_DEP_2) | instskip(NEXT) | instid1(VALU_DEP_2)
	v_add_nc_u32_e32 v151, v151, v162
	v_xor_b32_e32 v161, 1, v161
	s_delay_alu instid0(VALU_DEP_2) | instskip(NEXT) | instid1(VALU_DEP_1)
	v_and_b32_e32 v98, 0xfffff, v151
	v_add_nc_u32_e32 v151, v98, v162
                                        ; implicit-def: $vgpr98
	s_delay_alu instid0(VALU_DEP_3)
	v_cmpx_ne_u32_e64 v160, v161
	s_xor_b32 s8, exec_lo, s8
; %bb.223:                              ;   in Loop: Header=BB4_130 Depth=3
	s_delay_alu instid0(VALU_DEP_2) | instskip(SKIP_2) | instid1(VALU_DEP_2)
	v_cmp_lt_u32_e32 vcc_lo, 0xffffff, v151
	v_sub_nc_u32_e32 v98, v160, v161
	v_cndmask_b32_e64 v160, 0, 1, vcc_lo
	v_add_co_ci_u32_e32 v98, vcc_lo, 0, v98, vcc_lo
	s_delay_alu instid0(VALU_DEP_2)
	v_lshrrev_b32_e32 v151, v160, v151
; %bb.224:                              ;   in Loop: Header=BB4_130 Depth=3
	s_and_not1_saveexec_b32 s8, s8
; %bb.225:                              ;   in Loop: Header=BB4_130 Depth=3
	s_delay_alu instid0(VALU_DEP_1)
	v_bfe_u32 v98, v151, 23, 1
; %bb.226:                              ;   in Loop: Header=BB4_130 Depth=3
	s_or_b32 exec_lo, exec_lo, s8
	v_lshrrev_b32_e32 v151, 20, v151
	s_delay_alu instid0(VALU_DEP_2) | instskip(SKIP_2) | instid1(VALU_DEP_2)
	v_cmp_gt_i32_e32 vcc_lo, 16, v98
	v_lshrrev_b32_e32 v150, 24, v150
	v_min_i32_e32 v160, 15, v98
	v_dual_cndmask_b32 v151, 7, v151 :: v_dual_and_b32 v150, 0x80, v150
	s_delay_alu instid0(VALU_DEP_2) | instskip(NEXT) | instid1(VALU_DEP_2)
	v_lshlrev_b32_e32 v160, 3, v160
	v_or_b32_e32 v98, v98, v151
	s_delay_alu instid0(VALU_DEP_1) | instskip(SKIP_1) | instid1(VALU_DEP_1)
	v_cmp_ne_u32_e32 vcc_lo, 0, v98
	v_and_b32_e32 v161, 7, v151
	v_or3_b32 v150, v160, v150, v161
	s_delay_alu instid0(VALU_DEP_1)
	v_cndmask_b32_e32 v98, 0, v150, vcc_lo
.LBB4_227:                              ;   in Loop: Header=BB4_130 Depth=3
	s_or_b32 exec_lo, exec_lo, s20
.LBB4_228:                              ;   in Loop: Header=BB4_130 Depth=3
	s_delay_alu instid0(SALU_CYCLE_1) | instskip(SKIP_3) | instid1(VALU_DEP_1)
	s_or_b32 exec_lo, exec_lo, s9
	v_lshrrev_b16 v150, 8, v99
	s_mov_b32 s8, 0
	s_mov_b32 s20, exec_lo
                                        ; implicit-def: $sgpr9
	v_cmpx_lt_i16_e64 0x7f, v150
	s_xor_b32 s20, exec_lo, s20
	s_cbranch_execnz .LBB4_314
; %bb.229:                              ;   in Loop: Header=BB4_130 Depth=3
	s_or_saveexec_b32 s20, s20
	v_mov_b32_e32 v99, s9
	s_xor_b32 exec_lo, exec_lo, s20
	s_cbranch_execnz .LBB4_317
.LBB4_230:                              ;   in Loop: Header=BB4_130 Depth=3
	s_or_b32 exec_lo, exec_lo, s20
	s_and_saveexec_b32 s9, s8
	s_cbranch_execz .LBB4_232
.LBB4_231:                              ;   in Loop: Header=BB4_130 Depth=3
	v_and_b32_e32 v99, 0xffff, v150
	s_delay_alu instid0(VALU_DEP_1) | instskip(NEXT) | instid1(VALU_DEP_1)
	v_and_b32_e32 v151, 7, v99
	v_clz_i32_u32_e32 v160, v151
	s_delay_alu instid0(VALU_DEP_1) | instskip(NEXT) | instid1(VALU_DEP_1)
	v_min_u32_e32 v160, 32, v160
	v_subrev_nc_u32_e32 v161, 28, v160
	v_sub_nc_u32_e32 v160, 29, v160
	s_delay_alu instid0(VALU_DEP_2) | instskip(SKIP_1) | instid1(VALU_DEP_2)
	v_lshlrev_b32_e32 v161, v161, v99
	v_bfe_u32 v99, v99, 3, 4
	v_and_b32_e32 v161, 7, v161
	s_delay_alu instid0(VALU_DEP_2) | instskip(SKIP_1) | instid1(VALU_DEP_1)
	v_cmp_eq_u32_e32 vcc_lo, 0, v99
	v_dual_cndmask_b32 v99, v99, v160 :: v_dual_lshlrev_b32 v150, 24, v150
	v_dual_cndmask_b32 v151, v151, v161 :: v_dual_and_b32 v150, 0x80000000, v150
	s_delay_alu instid0(VALU_DEP_2) | instskip(NEXT) | instid1(VALU_DEP_2)
	v_lshl_add_u32 v99, v99, 23, 0x3b800000
	v_lshlrev_b32_e32 v151, 20, v151
	s_delay_alu instid0(VALU_DEP_1)
	v_or3_b32 v99, v150, v99, v151
.LBB4_232:                              ;   in Loop: Header=BB4_130 Depth=3
	s_or_b32 exec_lo, exec_lo, s9
	v_lshrrev_b16 v150, 8, v85
	s_mov_b32 s8, 0
	s_mov_b32 s20, exec_lo
                                        ; implicit-def: $sgpr9
	s_delay_alu instid0(VALU_DEP_1)
	v_cmpx_lt_i16_e64 0x7f, v150
	s_xor_b32 s20, exec_lo, s20
	s_cbranch_execnz .LBB4_318
; %bb.233:                              ;   in Loop: Header=BB4_130 Depth=3
	s_or_saveexec_b32 s20, s20
	v_mov_b32_e32 v151, s9
	s_xor_b32 exec_lo, exec_lo, s20
	s_cbranch_execnz .LBB4_321
.LBB4_234:                              ;   in Loop: Header=BB4_130 Depth=3
	s_or_b32 exec_lo, exec_lo, s20
	s_and_saveexec_b32 s9, s8
	s_cbranch_execz .LBB4_236
.LBB4_235:                              ;   in Loop: Header=BB4_130 Depth=3
	v_and_b32_e32 v151, 0xffff, v150
	v_lshlrev_b32_e32 v150, 24, v150
	s_delay_alu instid0(VALU_DEP_2) | instskip(NEXT) | instid1(VALU_DEP_2)
	v_and_b32_e32 v160, 7, v151
	v_and_b32_e32 v150, 0x80000000, v150
	s_delay_alu instid0(VALU_DEP_2) | instskip(NEXT) | instid1(VALU_DEP_1)
	v_clz_i32_u32_e32 v161, v160
	v_min_u32_e32 v161, 32, v161
	s_delay_alu instid0(VALU_DEP_1) | instskip(SKIP_1) | instid1(VALU_DEP_2)
	v_subrev_nc_u32_e32 v162, 28, v161
	v_sub_nc_u32_e32 v161, 29, v161
	v_lshlrev_b32_e32 v162, v162, v151
	v_bfe_u32 v151, v151, 3, 4
	s_delay_alu instid0(VALU_DEP_2) | instskip(NEXT) | instid1(VALU_DEP_2)
	v_and_b32_e32 v162, 7, v162
	v_cmp_eq_u32_e32 vcc_lo, 0, v151
	s_delay_alu instid0(VALU_DEP_2) | instskip(NEXT) | instid1(VALU_DEP_1)
	v_dual_cndmask_b32 v151, v151, v161 :: v_dual_cndmask_b32 v160, v160, v162
	v_lshl_add_u32 v151, v151, 23, 0x3b800000
	s_delay_alu instid0(VALU_DEP_2) | instskip(NEXT) | instid1(VALU_DEP_1)
	v_lshlrev_b32_e32 v160, 20, v160
	v_or3_b32 v151, v150, v151, v160
.LBB4_236:                              ;   in Loop: Header=BB4_130 Depth=3
	s_or_b32 exec_lo, exec_lo, s9
	s_delay_alu instid0(VALU_DEP_1) | instskip(NEXT) | instid1(VALU_DEP_1)
	v_add_f32_e32 v150, v99, v151
	v_and_b32_e32 v99, 0x7f800000, v150
	s_delay_alu instid0(VALU_DEP_1)
	v_cmp_ne_u32_e32 vcc_lo, 0x7f800000, v99
	v_mov_b32_e32 v99, 0x8000
	s_and_saveexec_b32 s9, vcc_lo
	s_cbranch_execz .LBB4_244
; %bb.237:                              ;   in Loop: Header=BB4_130 Depth=3
	v_mov_b32_e32 v99, 0
	s_mov_b32 s20, exec_lo
	v_cmpx_ne_u32_e32 0, v150
	s_cbranch_execz .LBB4_243
; %bb.238:                              ;   in Loop: Header=BB4_130 Depth=3
	v_bfe_u32 v99, v150, 23, 8
	s_delay_alu instid0(VALU_DEP_1) | instskip(SKIP_1) | instid1(VALU_DEP_2)
	v_sub_nc_u32_e32 v160, 0x78, v99
	v_cmp_gt_u32_e32 vcc_lo, 0x79, v99
	v_dual_cndmask_b32 v160, 0, v160 :: v_dual_and_b32 v151, 0x7fffff, v150
	s_delay_alu instid0(VALU_DEP_1) | instskip(SKIP_2) | instid1(VALU_DEP_4)
	v_or_b32_e32 v161, 0x800000, v151
	v_cmp_eq_u32_e32 vcc_lo, 0, v99
	v_add_nc_u32_e32 v99, 0xffffff89, v99
	v_cndmask_b32_e64 v160, v160, 0x77, vcc_lo
	s_delay_alu instid0(VALU_DEP_4) | instskip(NEXT) | instid1(VALU_DEP_3)
	v_cndmask_b32_e32 v151, v161, v151, vcc_lo
	v_cndmask_b32_e64 v99, v99, 0xffffff8a, vcc_lo
	s_delay_alu instid0(VALU_DEP_3) | instskip(NEXT) | instid1(VALU_DEP_3)
	v_lshl_add_u32 v161, 0x100000, v160, -1
	v_lshrrev_b32_e32 v162, v160, v151
	v_lshlrev_b32_e64 v164, v160, 0x80000
	s_delay_alu instid0(VALU_DEP_4) | instskip(NEXT) | instid1(VALU_DEP_4)
	v_add_nc_u32_e32 v160, v160, v99
	v_and_b32_e32 v151, v161, v151
	s_delay_alu instid0(VALU_DEP_4) | instskip(NEXT) | instid1(VALU_DEP_2)
	v_bfe_u32 v163, v162, 20, 1
	v_cmp_eq_u32_e64 s8, v151, v164
	s_delay_alu instid0(VALU_DEP_2) | instskip(NEXT) | instid1(VALU_DEP_1)
	v_add_nc_u32_e32 v161, -1, v163
	v_cndmask_b32_e64 v151, 0, v161, s8
	v_lshrrev_b32_e32 v161, 23, v162
	s_mov_b32 s8, exec_lo
	s_delay_alu instid0(VALU_DEP_2) | instskip(NEXT) | instid1(VALU_DEP_2)
	v_add_nc_u32_e32 v151, v151, v162
	v_xor_b32_e32 v161, 1, v161
	s_delay_alu instid0(VALU_DEP_2) | instskip(NEXT) | instid1(VALU_DEP_1)
	v_and_b32_e32 v99, 0xfffff, v151
	v_add_nc_u32_e32 v151, v99, v162
                                        ; implicit-def: $vgpr99
	s_delay_alu instid0(VALU_DEP_3)
	v_cmpx_ne_u32_e64 v160, v161
	s_xor_b32 s8, exec_lo, s8
; %bb.239:                              ;   in Loop: Header=BB4_130 Depth=3
	s_delay_alu instid0(VALU_DEP_2) | instskip(SKIP_2) | instid1(VALU_DEP_2)
	v_cmp_lt_u32_e32 vcc_lo, 0xffffff, v151
	v_sub_nc_u32_e32 v99, v160, v161
	v_cndmask_b32_e64 v160, 0, 1, vcc_lo
	v_add_co_ci_u32_e32 v99, vcc_lo, 0, v99, vcc_lo
	s_delay_alu instid0(VALU_DEP_2)
	v_lshrrev_b32_e32 v151, v160, v151
; %bb.240:                              ;   in Loop: Header=BB4_130 Depth=3
	s_and_not1_saveexec_b32 s8, s8
; %bb.241:                              ;   in Loop: Header=BB4_130 Depth=3
	s_delay_alu instid0(VALU_DEP_1)
	v_bfe_u32 v99, v151, 23, 1
; %bb.242:                              ;   in Loop: Header=BB4_130 Depth=3
	s_or_b32 exec_lo, exec_lo, s8
	v_lshrrev_b32_e32 v151, 20, v151
	s_delay_alu instid0(VALU_DEP_2) | instskip(SKIP_2) | instid1(VALU_DEP_2)
	v_cmp_gt_i32_e32 vcc_lo, 16, v99
	v_min_i32_e32 v160, 15, v99
	v_lshrrev_b32_e32 v150, 24, v150
	v_dual_cndmask_b32 v151, 7, v151 :: v_dual_lshlrev_b32 v160, 3, v160
	s_delay_alu instid0(VALU_DEP_2) | instskip(NEXT) | instid1(VALU_DEP_2)
	v_and_b32_e32 v150, 0x80, v150
	v_or_b32_e32 v99, v99, v151
	v_and_b32_e32 v161, 7, v151
	s_delay_alu instid0(VALU_DEP_2) | instskip(SKIP_1) | instid1(VALU_DEP_1)
	v_cmp_ne_u32_e32 vcc_lo, 0, v99
	v_and_b32_e32 v160, 0xf8, v160
	v_or3_b32 v150, v150, v160, v161
	s_delay_alu instid0(VALU_DEP_1) | instskip(NEXT) | instid1(VALU_DEP_1)
	v_lshlrev_b32_e32 v150, 8, v150
	v_cndmask_b32_e32 v99, 0, v150, vcc_lo
.LBB4_243:                              ;   in Loop: Header=BB4_130 Depth=3
	s_or_b32 exec_lo, exec_lo, s20
.LBB4_244:                              ;   in Loop: Header=BB4_130 Depth=3
	s_delay_alu instid0(SALU_CYCLE_1) | instskip(SKIP_3) | instid1(VALU_DEP_1)
	s_or_b32 exec_lo, exec_lo, s9
	v_lshrrev_b32_e32 v151, 16, v22
	s_mov_b32 s8, 0
	s_mov_b32 s20, exec_lo
                                        ; implicit-def: $sgpr9
	v_and_b32_e32 v160, 0xff, v151
	s_delay_alu instid0(VALU_DEP_1)
	v_cmpx_lt_i16_e64 0x7f, v160
	s_xor_b32 s20, exec_lo, s20
	s_cbranch_execnz .LBB4_322
; %bb.245:                              ;   in Loop: Header=BB4_130 Depth=3
	s_or_saveexec_b32 s20, s20
	v_mov_b32_e32 v150, s9
	s_xor_b32 exec_lo, exec_lo, s20
	s_cbranch_execnz .LBB4_325
.LBB4_246:                              ;   in Loop: Header=BB4_130 Depth=3
	s_or_b32 exec_lo, exec_lo, s20
	s_and_saveexec_b32 s9, s8
	s_cbranch_execz .LBB4_248
.LBB4_247:                              ;   in Loop: Header=BB4_130 Depth=3
	v_bfe_u32 v150, v22, 16, 3
	v_lshlrev_b32_e32 v162, 8, v22
	s_delay_alu instid0(VALU_DEP_2) | instskip(NEXT) | instid1(VALU_DEP_1)
	v_clz_i32_u32_e32 v160, v150
	v_min_u32_e32 v160, 32, v160
	s_delay_alu instid0(VALU_DEP_1) | instskip(SKIP_1) | instid1(VALU_DEP_2)
	v_subrev_nc_u32_e32 v161, 28, v160
	v_sub_nc_u32_e32 v160, 29, v160
	v_lshlrev_b32_e32 v151, v161, v151
	v_bfe_u32 v161, v22, 19, 4
	s_delay_alu instid0(VALU_DEP_1) | instskip(NEXT) | instid1(VALU_DEP_3)
	v_cmp_eq_u32_e32 vcc_lo, 0, v161
	v_dual_cndmask_b32 v160, v161, v160 :: v_dual_and_b32 v151, 7, v151
	s_delay_alu instid0(VALU_DEP_1) | instskip(NEXT) | instid1(VALU_DEP_2)
	v_dual_cndmask_b32 v150, v150, v151 :: v_dual_and_b32 v151, 0x80000000, v162
	v_lshl_add_u32 v160, v160, 23, 0x3b800000
	s_delay_alu instid0(VALU_DEP_2) | instskip(NEXT) | instid1(VALU_DEP_1)
	v_lshlrev_b32_e32 v150, 20, v150
	v_or3_b32 v150, v151, v160, v150
.LBB4_248:                              ;   in Loop: Header=BB4_130 Depth=3
	s_or_b32 exec_lo, exec_lo, s9
	v_lshrrev_b32_e32 v151, 16, v85
	s_mov_b32 s8, 0
	s_mov_b32 s20, exec_lo
                                        ; implicit-def: $sgpr9
	s_delay_alu instid0(VALU_DEP_1) | instskip(NEXT) | instid1(VALU_DEP_1)
	v_and_b32_e32 v161, 0xff, v151
	v_cmpx_lt_i16_e64 0x7f, v161
	s_xor_b32 s20, exec_lo, s20
	s_cbranch_execnz .LBB4_326
; %bb.249:                              ;   in Loop: Header=BB4_130 Depth=3
	s_or_saveexec_b32 s20, s20
	v_mov_b32_e32 v160, s9
	s_xor_b32 exec_lo, exec_lo, s20
	s_cbranch_execnz .LBB4_329
.LBB4_250:                              ;   in Loop: Header=BB4_130 Depth=3
	s_or_b32 exec_lo, exec_lo, s20
	s_and_saveexec_b32 s9, s8
	s_cbranch_execz .LBB4_252
.LBB4_251:                              ;   in Loop: Header=BB4_130 Depth=3
	v_bfe_u32 v160, v85, 16, 3
	v_lshlrev_b32_e32 v163, 8, v85
	s_delay_alu instid0(VALU_DEP_2) | instskip(NEXT) | instid1(VALU_DEP_1)
	v_clz_i32_u32_e32 v161, v160
	v_min_u32_e32 v161, 32, v161
	s_delay_alu instid0(VALU_DEP_1) | instskip(SKIP_1) | instid1(VALU_DEP_2)
	v_subrev_nc_u32_e32 v162, 28, v161
	v_sub_nc_u32_e32 v161, 29, v161
	v_lshlrev_b32_e32 v151, v162, v151
	v_bfe_u32 v162, v85, 19, 4
	s_delay_alu instid0(VALU_DEP_2) | instskip(NEXT) | instid1(VALU_DEP_2)
	v_and_b32_e32 v151, 7, v151
	v_cmp_eq_u32_e32 vcc_lo, 0, v162
	v_cndmask_b32_e32 v161, v162, v161, vcc_lo
	s_delay_alu instid0(VALU_DEP_3) | instskip(SKIP_1) | instid1(VALU_DEP_3)
	v_cndmask_b32_e32 v151, v160, v151, vcc_lo
	v_and_b32_e32 v160, 0x80000000, v163
	v_lshl_add_u32 v161, v161, 23, 0x3b800000
	s_delay_alu instid0(VALU_DEP_3) | instskip(NEXT) | instid1(VALU_DEP_1)
	v_lshlrev_b32_e32 v151, 20, v151
	v_or3_b32 v160, v160, v161, v151
.LBB4_252:                              ;   in Loop: Header=BB4_130 Depth=3
	s_or_b32 exec_lo, exec_lo, s9
	s_delay_alu instid0(VALU_DEP_1) | instskip(NEXT) | instid1(VALU_DEP_1)
	v_add_f32_e32 v151, v150, v160
	v_and_b32_e32 v150, 0x7f800000, v151
	s_delay_alu instid0(VALU_DEP_1)
	v_cmp_ne_u32_e32 vcc_lo, 0x7f800000, v150
	v_mov_b32_e32 v150, 0x80
	s_and_saveexec_b32 s9, vcc_lo
	s_cbranch_execz .LBB4_260
; %bb.253:                              ;   in Loop: Header=BB4_130 Depth=3
	v_mov_b32_e32 v150, 0
	s_mov_b32 s20, exec_lo
	v_cmpx_ne_u32_e32 0, v151
	s_cbranch_execz .LBB4_259
; %bb.254:                              ;   in Loop: Header=BB4_130 Depth=3
	v_bfe_u32 v150, v151, 23, 8
	s_delay_alu instid0(VALU_DEP_1) | instskip(SKIP_1) | instid1(VALU_DEP_2)
	v_sub_nc_u32_e32 v161, 0x78, v150
	v_cmp_gt_u32_e32 vcc_lo, 0x79, v150
	v_dual_cndmask_b32 v161, 0, v161 :: v_dual_and_b32 v160, 0x7fffff, v151
	s_delay_alu instid0(VALU_DEP_1) | instskip(SKIP_2) | instid1(VALU_DEP_4)
	v_or_b32_e32 v162, 0x800000, v160
	v_cmp_eq_u32_e32 vcc_lo, 0, v150
	v_add_nc_u32_e32 v150, 0xffffff89, v150
	v_cndmask_b32_e64 v161, v161, 0x77, vcc_lo
	s_delay_alu instid0(VALU_DEP_2) | instskip(SKIP_1) | instid1(VALU_DEP_3)
	v_cndmask_b32_e64 v150, v150, 0xffffff8a, vcc_lo
	v_cndmask_b32_e32 v160, v162, v160, vcc_lo
	v_lshl_add_u32 v162, 0x100000, v161, -1
	v_lshlrev_b32_e64 v165, v161, 0x80000
	s_delay_alu instid0(VALU_DEP_3) | instskip(SKIP_1) | instid1(VALU_DEP_4)
	v_lshrrev_b32_e32 v163, v161, v160
	v_add_nc_u32_e32 v161, v161, v150
	v_and_b32_e32 v160, v162, v160
	s_delay_alu instid0(VALU_DEP_3) | instskip(NEXT) | instid1(VALU_DEP_2)
	v_bfe_u32 v164, v163, 20, 1
	v_cmp_eq_u32_e64 s8, v160, v165
	s_delay_alu instid0(VALU_DEP_2) | instskip(NEXT) | instid1(VALU_DEP_1)
	v_add_nc_u32_e32 v162, -1, v164
	v_cndmask_b32_e64 v160, 0, v162, s8
	v_lshrrev_b32_e32 v162, 23, v163
	s_mov_b32 s8, exec_lo
	s_delay_alu instid0(VALU_DEP_2) | instskip(NEXT) | instid1(VALU_DEP_2)
	v_add_nc_u32_e32 v160, v160, v163
	v_xor_b32_e32 v162, 1, v162
	s_delay_alu instid0(VALU_DEP_2) | instskip(NEXT) | instid1(VALU_DEP_1)
	v_and_b32_e32 v150, 0xfffff, v160
	v_add_nc_u32_e32 v160, v150, v163
                                        ; implicit-def: $vgpr150
	s_delay_alu instid0(VALU_DEP_3)
	v_cmpx_ne_u32_e64 v161, v162
	s_xor_b32 s8, exec_lo, s8
; %bb.255:                              ;   in Loop: Header=BB4_130 Depth=3
	s_delay_alu instid0(VALU_DEP_2) | instskip(SKIP_2) | instid1(VALU_DEP_2)
	v_cmp_lt_u32_e32 vcc_lo, 0xffffff, v160
	v_sub_nc_u32_e32 v150, v161, v162
	v_cndmask_b32_e64 v161, 0, 1, vcc_lo
	v_add_co_ci_u32_e32 v150, vcc_lo, 0, v150, vcc_lo
	s_delay_alu instid0(VALU_DEP_2)
	v_lshrrev_b32_e32 v160, v161, v160
; %bb.256:                              ;   in Loop: Header=BB4_130 Depth=3
	s_and_not1_saveexec_b32 s8, s8
; %bb.257:                              ;   in Loop: Header=BB4_130 Depth=3
	s_delay_alu instid0(VALU_DEP_1)
	v_bfe_u32 v150, v160, 23, 1
; %bb.258:                              ;   in Loop: Header=BB4_130 Depth=3
	s_or_b32 exec_lo, exec_lo, s8
	v_lshrrev_b32_e32 v160, 20, v160
	s_delay_alu instid0(VALU_DEP_2) | instskip(SKIP_2) | instid1(VALU_DEP_2)
	v_cmp_gt_i32_e32 vcc_lo, 16, v150
	v_min_i32_e32 v161, 15, v150
	v_lshrrev_b32_e32 v151, 24, v151
	v_dual_cndmask_b32 v160, 7, v160 :: v_dual_lshlrev_b32 v161, 3, v161
	s_delay_alu instid0(VALU_DEP_2) | instskip(NEXT) | instid1(VALU_DEP_2)
	v_and_b32_e32 v151, 0x80, v151
	v_or_b32_e32 v150, v150, v160
	v_and_b32_e32 v162, 7, v160
	s_delay_alu instid0(VALU_DEP_2) | instskip(SKIP_1) | instid1(VALU_DEP_1)
	v_cmp_ne_u32_e32 vcc_lo, 0, v150
	v_and_b32_e32 v161, 0xf8, v161
	v_or3_b32 v151, v161, v151, v162
	s_delay_alu instid0(VALU_DEP_1)
	v_cndmask_b32_e32 v150, 0, v151, vcc_lo
.LBB4_259:                              ;   in Loop: Header=BB4_130 Depth=3
	s_or_b32 exec_lo, exec_lo, s20
.LBB4_260:                              ;   in Loop: Header=BB4_130 Depth=3
	s_delay_alu instid0(SALU_CYCLE_1) | instskip(SKIP_3) | instid1(VALU_DEP_1)
	s_or_b32 exec_lo, exec_lo, s9
	v_lshrrev_b32_e32 v160, 24, v22
	s_mov_b32 s8, 0
	s_mov_b32 s20, exec_lo
                                        ; implicit-def: $sgpr9
	v_cmpx_lt_i16_e64 0x7f, v160
	s_xor_b32 s20, exec_lo, s20
	s_cbranch_execnz .LBB4_330
; %bb.261:                              ;   in Loop: Header=BB4_130 Depth=3
	s_or_saveexec_b32 s20, s20
	v_mov_b32_e32 v151, s9
	s_xor_b32 exec_lo, exec_lo, s20
	s_cbranch_execnz .LBB4_333
.LBB4_262:                              ;   in Loop: Header=BB4_130 Depth=3
	s_or_b32 exec_lo, exec_lo, s20
	s_and_saveexec_b32 s9, s8
	s_cbranch_execz .LBB4_264
.LBB4_263:                              ;   in Loop: Header=BB4_130 Depth=3
	v_bfe_u32 v151, v22, 24, 3
	s_delay_alu instid0(VALU_DEP_1) | instskip(NEXT) | instid1(VALU_DEP_1)
	v_clz_i32_u32_e32 v161, v151
	v_min_u32_e32 v161, 32, v161
	s_delay_alu instid0(VALU_DEP_1) | instskip(SKIP_1) | instid1(VALU_DEP_2)
	v_subrev_nc_u32_e32 v162, 28, v161
	v_sub_nc_u32_e32 v161, 29, v161
	v_lshlrev_b32_e32 v160, v162, v160
	v_bfe_u32 v162, v22, 27, 4
	v_and_b32_e32 v22, 0x80000000, v22
	s_delay_alu instid0(VALU_DEP_2) | instskip(NEXT) | instid1(VALU_DEP_4)
	v_cmp_eq_u32_e32 vcc_lo, 0, v162
	v_dual_cndmask_b32 v161, v162, v161 :: v_dual_and_b32 v160, 7, v160
	s_delay_alu instid0(VALU_DEP_1) | instskip(NEXT) | instid1(VALU_DEP_2)
	v_cndmask_b32_e32 v151, v151, v160, vcc_lo
	v_lshl_add_u32 v160, v161, 23, 0x3b800000
	s_delay_alu instid0(VALU_DEP_2) | instskip(NEXT) | instid1(VALU_DEP_1)
	v_lshlrev_b32_e32 v151, 20, v151
	v_or3_b32 v151, v22, v160, v151
.LBB4_264:                              ;   in Loop: Header=BB4_130 Depth=3
	s_or_b32 exec_lo, exec_lo, s9
	v_lshrrev_b32_e32 v22, 24, v85
	s_mov_b32 s8, 0
	s_mov_b32 s20, exec_lo
                                        ; implicit-def: $sgpr9
	s_delay_alu instid0(VALU_DEP_1)
	v_cmpx_lt_i16_e32 0x7f, v22
	s_xor_b32 s20, exec_lo, s20
	s_cbranch_execnz .LBB4_334
; %bb.265:                              ;   in Loop: Header=BB4_130 Depth=3
	s_or_saveexec_b32 s20, s20
	v_mov_b32_e32 v160, s9
	s_xor_b32 exec_lo, exec_lo, s20
	s_cbranch_execnz .LBB4_337
.LBB4_266:                              ;   in Loop: Header=BB4_130 Depth=3
	s_or_b32 exec_lo, exec_lo, s20
	s_and_saveexec_b32 s9, s8
	s_cbranch_execz .LBB4_268
.LBB4_267:                              ;   in Loop: Header=BB4_130 Depth=3
	v_bfe_u32 v160, v85, 24, 3
	s_delay_alu instid0(VALU_DEP_1) | instskip(NEXT) | instid1(VALU_DEP_1)
	v_clz_i32_u32_e32 v161, v160
	v_min_u32_e32 v161, 32, v161
	s_delay_alu instid0(VALU_DEP_1) | instskip(SKIP_1) | instid1(VALU_DEP_2)
	v_subrev_nc_u32_e32 v162, 28, v161
	v_sub_nc_u32_e32 v161, 29, v161
	v_lshlrev_b32_e32 v22, v162, v22
	v_bfe_u32 v162, v85, 27, 4
	v_and_b32_e32 v85, 0x80000000, v85
	s_delay_alu instid0(VALU_DEP_2) | instskip(NEXT) | instid1(VALU_DEP_4)
	v_cmp_eq_u32_e32 vcc_lo, 0, v162
	v_dual_cndmask_b32 v161, v162, v161 :: v_dual_and_b32 v22, 7, v22
	s_delay_alu instid0(VALU_DEP_1) | instskip(NEXT) | instid1(VALU_DEP_2)
	v_cndmask_b32_e32 v22, v160, v22, vcc_lo
	v_lshl_add_u32 v160, v161, 23, 0x3b800000
	s_delay_alu instid0(VALU_DEP_2) | instskip(NEXT) | instid1(VALU_DEP_1)
	v_lshlrev_b32_e32 v22, 20, v22
	v_or3_b32 v160, v85, v160, v22
.LBB4_268:                              ;   in Loop: Header=BB4_130 Depth=3
	s_or_b32 exec_lo, exec_lo, s9
	s_delay_alu instid0(VALU_DEP_1) | instskip(NEXT) | instid1(VALU_DEP_1)
	v_add_f32_e32 v22, v151, v160
	v_and_b32_e32 v85, 0x7f800000, v22
	s_delay_alu instid0(VALU_DEP_1)
	v_cmp_ne_u32_e32 vcc_lo, 0x7f800000, v85
	v_mov_b32_e32 v85, 0x8000
	s_and_saveexec_b32 s9, vcc_lo
	s_cbranch_execz .LBB4_129
; %bb.269:                              ;   in Loop: Header=BB4_130 Depth=3
	v_mov_b32_e32 v85, 0
	s_mov_b32 s20, exec_lo
	v_cmpx_ne_u32_e32 0, v22
	s_cbranch_execz .LBB4_128
; %bb.270:                              ;   in Loop: Header=BB4_130 Depth=3
	v_bfe_u32 v85, v22, 23, 8
	s_delay_alu instid0(VALU_DEP_1) | instskip(SKIP_1) | instid1(VALU_DEP_2)
	v_sub_nc_u32_e32 v160, 0x78, v85
	v_cmp_gt_u32_e32 vcc_lo, 0x79, v85
	v_dual_cndmask_b32 v160, 0, v160 :: v_dual_and_b32 v151, 0x7fffff, v22
	s_delay_alu instid0(VALU_DEP_1) | instskip(SKIP_2) | instid1(VALU_DEP_4)
	v_or_b32_e32 v161, 0x800000, v151
	v_cmp_eq_u32_e32 vcc_lo, 0, v85
	v_add_nc_u32_e32 v85, 0xffffff89, v85
	v_cndmask_b32_e64 v160, v160, 0x77, vcc_lo
	s_delay_alu instid0(VALU_DEP_2) | instskip(SKIP_1) | instid1(VALU_DEP_3)
	v_cndmask_b32_e64 v85, v85, 0xffffff8a, vcc_lo
	v_cndmask_b32_e32 v151, v161, v151, vcc_lo
	v_lshl_add_u32 v161, 0x100000, v160, -1
	v_lshlrev_b32_e64 v164, v160, 0x80000
	s_delay_alu instid0(VALU_DEP_3) | instskip(SKIP_1) | instid1(VALU_DEP_4)
	v_lshrrev_b32_e32 v162, v160, v151
	v_add_nc_u32_e32 v160, v160, v85
	v_and_b32_e32 v151, v161, v151
	s_delay_alu instid0(VALU_DEP_3) | instskip(NEXT) | instid1(VALU_DEP_2)
	v_bfe_u32 v163, v162, 20, 1
	v_cmp_eq_u32_e64 s8, v151, v164
	s_delay_alu instid0(VALU_DEP_2) | instskip(NEXT) | instid1(VALU_DEP_1)
	v_add_nc_u32_e32 v161, -1, v163
	v_cndmask_b32_e64 v151, 0, v161, s8
	v_lshrrev_b32_e32 v161, 23, v162
	s_mov_b32 s8, exec_lo
	s_delay_alu instid0(VALU_DEP_2) | instskip(NEXT) | instid1(VALU_DEP_2)
	v_add_nc_u32_e32 v151, v151, v162
	v_xor_b32_e32 v161, 1, v161
	s_delay_alu instid0(VALU_DEP_2) | instskip(NEXT) | instid1(VALU_DEP_1)
	v_and_b32_e32 v85, 0xfffff, v151
	v_add_nc_u32_e32 v151, v85, v162
                                        ; implicit-def: $vgpr85
	s_delay_alu instid0(VALU_DEP_3)
	v_cmpx_ne_u32_e64 v160, v161
	s_xor_b32 s8, exec_lo, s8
; %bb.271:                              ;   in Loop: Header=BB4_130 Depth=3
	s_delay_alu instid0(VALU_DEP_2) | instskip(SKIP_2) | instid1(VALU_DEP_2)
	v_cmp_lt_u32_e32 vcc_lo, 0xffffff, v151
	v_sub_nc_u32_e32 v85, v160, v161
	v_cndmask_b32_e64 v160, 0, 1, vcc_lo
	v_add_co_ci_u32_e32 v85, vcc_lo, 0, v85, vcc_lo
	s_delay_alu instid0(VALU_DEP_2)
	v_lshrrev_b32_e32 v151, v160, v151
; %bb.272:                              ;   in Loop: Header=BB4_130 Depth=3
	s_and_not1_saveexec_b32 s8, s8
	s_cbranch_execz .LBB4_127
; %bb.273:                              ;   in Loop: Header=BB4_130 Depth=3
	s_delay_alu instid0(VALU_DEP_1)
	v_bfe_u32 v85, v151, 23, 1
	s_branch .LBB4_127
.LBB4_274:                              ;   in Loop: Header=BB4_130 Depth=3
	s_mov_b32 s8, -1
	s_mov_b32 s21, exec_lo
                                        ; implicit-def: $sgpr9
	v_cmpx_eq_u16_e32 0x80, v23
; %bb.275:                              ;   in Loop: Header=BB4_130 Depth=3
	s_mov_b32 s9, 0x7f800001
	s_xor_b32 s8, exec_lo, -1
; %bb.276:                              ;   in Loop: Header=BB4_130 Depth=3
	s_or_b32 exec_lo, exec_lo, s21
	s_delay_alu instid0(SALU_CYCLE_1)
	s_and_b32 s8, s8, exec_lo
                                        ; implicit-def: $vgpr23
	s_or_saveexec_b32 s20, s20
	v_mov_b32_e32 v21, s9
	s_xor_b32 exec_lo, exec_lo, s20
	s_cbranch_execz .LBB4_150
.LBB4_277:                              ;   in Loop: Header=BB4_130 Depth=3
	v_cmp_ne_u16_e32 vcc_lo, 0, v23
	v_mov_b32_e32 v21, 0
	s_and_not1_b32 s8, s8, exec_lo
	s_and_b32 s9, vcc_lo, exec_lo
	s_delay_alu instid0(SALU_CYCLE_1)
	s_or_b32 s8, s8, s9
	s_or_b32 exec_lo, exec_lo, s20
	s_and_saveexec_b32 s9, s8
	s_cbranch_execnz .LBB4_151
	s_branch .LBB4_152
.LBB4_278:                              ;   in Loop: Header=BB4_130 Depth=3
	s_mov_b32 s8, -1
	s_mov_b32 s21, exec_lo
                                        ; implicit-def: $sgpr9
	v_cmpx_eq_u16_e32 0x80, v23
; %bb.279:                              ;   in Loop: Header=BB4_130 Depth=3
	s_mov_b32 s9, 0x7f800001
	s_xor_b32 s8, exec_lo, -1
; %bb.280:                              ;   in Loop: Header=BB4_130 Depth=3
	s_or_b32 exec_lo, exec_lo, s21
	s_delay_alu instid0(SALU_CYCLE_1)
	s_and_b32 s8, s8, exec_lo
                                        ; implicit-def: $vgpr23
	s_or_saveexec_b32 s20, s20
	v_mov_b32_e32 v18, s9
	s_xor_b32 exec_lo, exec_lo, s20
	s_cbranch_execz .LBB4_154
.LBB4_281:                              ;   in Loop: Header=BB4_130 Depth=3
	v_cmp_ne_u16_e32 vcc_lo, 0, v23
	v_mov_b32_e32 v18, 0
	s_and_not1_b32 s8, s8, exec_lo
	s_and_b32 s9, vcc_lo, exec_lo
	s_delay_alu instid0(SALU_CYCLE_1)
	s_or_b32 s8, s8, s9
	s_or_b32 exec_lo, exec_lo, s20
	s_and_saveexec_b32 s9, s8
	s_cbranch_execnz .LBB4_155
	s_branch .LBB4_156
.LBB4_282:                              ;   in Loop: Header=BB4_130 Depth=3
	s_mov_b32 s8, -1
	s_mov_b32 s21, exec_lo
                                        ; implicit-def: $sgpr9
	v_cmpx_eq_u16_e32 0x80, v23
; %bb.283:                              ;   in Loop: Header=BB4_130 Depth=3
	s_mov_b32 s9, 0x7f800001
	s_xor_b32 s8, exec_lo, -1
; %bb.284:                              ;   in Loop: Header=BB4_130 Depth=3
	s_or_b32 exec_lo, exec_lo, s21
	s_delay_alu instid0(SALU_CYCLE_1)
	s_and_b32 s8, s8, exec_lo
	s_or_saveexec_b32 s20, s20
	v_mov_b32_e32 v21, s9
	s_xor_b32 exec_lo, exec_lo, s20
	s_cbranch_execz .LBB4_166
.LBB4_285:                              ;   in Loop: Header=BB4_130 Depth=3
	v_cmp_ne_u16_e32 vcc_lo, 0, v23
	v_mov_b32_e32 v21, 0
	s_and_not1_b32 s8, s8, exec_lo
	s_and_b32 s9, vcc_lo, exec_lo
	s_delay_alu instid0(SALU_CYCLE_1)
	s_or_b32 s8, s8, s9
	s_or_b32 exec_lo, exec_lo, s20
	s_and_saveexec_b32 s9, s8
	s_cbranch_execnz .LBB4_167
	s_branch .LBB4_168
.LBB4_286:                              ;   in Loop: Header=BB4_130 Depth=3
	s_mov_b32 s8, -1
	s_mov_b32 s21, exec_lo
                                        ; implicit-def: $sgpr9
	v_cmpx_eq_u16_e32 0x80, v23
; %bb.287:                              ;   in Loop: Header=BB4_130 Depth=3
	s_mov_b32 s9, 0x7f800001
	s_xor_b32 s8, exec_lo, -1
; %bb.288:                              ;   in Loop: Header=BB4_130 Depth=3
	s_or_b32 exec_lo, exec_lo, s21
	s_delay_alu instid0(SALU_CYCLE_1)
	s_and_b32 s8, s8, exec_lo
	s_or_saveexec_b32 s20, s20
	v_mov_b32_e32 v99, s9
	s_xor_b32 exec_lo, exec_lo, s20
	s_cbranch_execz .LBB4_170
.LBB4_289:                              ;   in Loop: Header=BB4_130 Depth=3
	v_cmp_ne_u16_e32 vcc_lo, 0, v23
	v_mov_b32_e32 v99, 0
	s_and_not1_b32 s8, s8, exec_lo
	s_and_b32 s9, vcc_lo, exec_lo
	s_delay_alu instid0(SALU_CYCLE_1)
	s_or_b32 s8, s8, s9
	s_or_b32 exec_lo, exec_lo, s20
	s_and_saveexec_b32 s9, s8
	s_cbranch_execnz .LBB4_171
	s_branch .LBB4_172
.LBB4_290:                              ;   in Loop: Header=BB4_130 Depth=3
	s_mov_b32 s8, -1
	s_mov_b32 s21, exec_lo
                                        ; implicit-def: $sgpr9
	v_cmpx_eq_u16_e64 0x80, v160
; %bb.291:                              ;   in Loop: Header=BB4_130 Depth=3
	s_mov_b32 s9, 0x7f800001
	s_xor_b32 s8, exec_lo, -1
; %bb.292:                              ;   in Loop: Header=BB4_130 Depth=3
	s_or_b32 exec_lo, exec_lo, s21
	s_delay_alu instid0(SALU_CYCLE_1)
	s_and_b32 s8, s8, exec_lo
                                        ; implicit-def: $vgpr160
	s_or_saveexec_b32 s20, s20
	v_mov_b32_e32 v23, s9
	s_xor_b32 exec_lo, exec_lo, s20
	s_cbranch_execz .LBB4_182
.LBB4_293:                              ;   in Loop: Header=BB4_130 Depth=3
	v_cmp_ne_u16_e64 vcc_lo, 0, v160
	v_mov_b32_e32 v23, 0
	s_and_not1_b32 s8, s8, exec_lo
	s_delay_alu instid0(VALU_DEP_2) | instskip(NEXT) | instid1(SALU_CYCLE_1)
	s_and_b32 s9, vcc_lo, exec_lo
	s_or_b32 s8, s8, s9
	s_or_b32 exec_lo, exec_lo, s20
	s_and_saveexec_b32 s9, s8
	s_cbranch_execnz .LBB4_183
	s_branch .LBB4_184
.LBB4_294:                              ;   in Loop: Header=BB4_130 Depth=3
	s_mov_b32 s8, -1
	s_mov_b32 s21, exec_lo
                                        ; implicit-def: $sgpr9
	v_cmpx_eq_u16_e64 0x80, v161
; %bb.295:                              ;   in Loop: Header=BB4_130 Depth=3
	s_mov_b32 s9, 0x7f800001
	s_xor_b32 s8, exec_lo, -1
; %bb.296:                              ;   in Loop: Header=BB4_130 Depth=3
	s_or_b32 exec_lo, exec_lo, s21
	s_delay_alu instid0(SALU_CYCLE_1)
	s_and_b32 s8, s8, exec_lo
                                        ; implicit-def: $vgpr161
	s_or_saveexec_b32 s20, s20
	v_mov_b32_e32 v160, s9
	s_xor_b32 exec_lo, exec_lo, s20
	s_cbranch_execz .LBB4_186
.LBB4_297:                              ;   in Loop: Header=BB4_130 Depth=3
	v_cmp_ne_u16_e64 vcc_lo, 0, v161
	v_mov_b32_e32 v160, 0
	s_and_not1_b32 s8, s8, exec_lo
	s_delay_alu instid0(VALU_DEP_2) | instskip(NEXT) | instid1(SALU_CYCLE_1)
	s_and_b32 s9, vcc_lo, exec_lo
	s_or_b32 s8, s8, s9
	s_or_b32 exec_lo, exec_lo, s20
	s_and_saveexec_b32 s9, s8
	s_cbranch_execnz .LBB4_187
	s_branch .LBB4_188
.LBB4_298:                              ;   in Loop: Header=BB4_130 Depth=3
	s_mov_b32 s8, -1
	s_mov_b32 s21, exec_lo
                                        ; implicit-def: $sgpr9
	v_cmpx_eq_u16_e64 0x80, v160
; %bb.299:                              ;   in Loop: Header=BB4_130 Depth=3
	s_mov_b32 s9, 0x7f800001
	s_xor_b32 s8, exec_lo, -1
; %bb.300:                              ;   in Loop: Header=BB4_130 Depth=3
	s_or_b32 exec_lo, exec_lo, s21
	s_delay_alu instid0(SALU_CYCLE_1)
	s_and_b32 s8, s8, exec_lo
	s_or_saveexec_b32 s20, s20
	v_mov_b32_e32 v99, s9
	s_xor_b32 exec_lo, exec_lo, s20
	s_cbranch_execz .LBB4_198
.LBB4_301:                              ;   in Loop: Header=BB4_130 Depth=3
	v_cmp_ne_u16_e64 vcc_lo, 0, v160
	v_mov_b32_e32 v99, 0
	s_and_not1_b32 s8, s8, exec_lo
	s_delay_alu instid0(VALU_DEP_2) | instskip(NEXT) | instid1(SALU_CYCLE_1)
	s_and_b32 s9, vcc_lo, exec_lo
	s_or_b32 s8, s8, s9
	s_or_b32 exec_lo, exec_lo, s20
	s_and_saveexec_b32 s9, s8
	s_cbranch_execnz .LBB4_199
	s_branch .LBB4_200
.LBB4_302:                              ;   in Loop: Header=BB4_130 Depth=3
	s_mov_b32 s8, -1
	s_mov_b32 s21, exec_lo
                                        ; implicit-def: $sgpr9
	v_cmpx_eq_u16_e32 0x80, v20
; %bb.303:                              ;   in Loop: Header=BB4_130 Depth=3
	s_mov_b32 s9, 0x7f800001
	s_xor_b32 s8, exec_lo, -1
; %bb.304:                              ;   in Loop: Header=BB4_130 Depth=3
	s_or_b32 exec_lo, exec_lo, s21
	s_delay_alu instid0(SALU_CYCLE_1)
	s_and_b32 s8, s8, exec_lo
	s_or_saveexec_b32 s20, s20
	v_mov_b32_e32 v160, s9
	s_xor_b32 exec_lo, exec_lo, s20
	s_cbranch_execz .LBB4_202
.LBB4_305:                              ;   in Loop: Header=BB4_130 Depth=3
	v_cmp_ne_u16_e32 vcc_lo, 0, v20
	v_mov_b32_e32 v160, 0
	s_and_not1_b32 s8, s8, exec_lo
	s_and_b32 s9, vcc_lo, exec_lo
	s_delay_alu instid0(SALU_CYCLE_1)
	s_or_b32 s8, s8, s9
	s_or_b32 exec_lo, exec_lo, s20
	s_and_saveexec_b32 s9, s8
	s_cbranch_execnz .LBB4_203
	s_branch .LBB4_204
.LBB4_306:                              ;   in Loop: Header=BB4_130 Depth=3
	s_mov_b32 s8, -1
	s_mov_b32 s21, exec_lo
                                        ; implicit-def: $sgpr9
	v_cmpx_eq_u16_e32 0x80, v99
; %bb.307:                              ;   in Loop: Header=BB4_130 Depth=3
	s_mov_b32 s9, 0x7f800001
	s_xor_b32 s8, exec_lo, -1
; %bb.308:                              ;   in Loop: Header=BB4_130 Depth=3
	s_or_b32 exec_lo, exec_lo, s21
	s_delay_alu instid0(SALU_CYCLE_1)
	s_and_b32 s8, s8, exec_lo
                                        ; implicit-def: $vgpr99
	s_or_saveexec_b32 s20, s20
	v_mov_b32_e32 v98, s9
	s_xor_b32 exec_lo, exec_lo, s20
	s_cbranch_execz .LBB4_214
.LBB4_309:                              ;   in Loop: Header=BB4_130 Depth=3
	v_cmp_ne_u16_e32 vcc_lo, 0, v99
	v_mov_b32_e32 v98, 0
	s_and_not1_b32 s8, s8, exec_lo
	s_and_b32 s9, vcc_lo, exec_lo
	s_delay_alu instid0(SALU_CYCLE_1)
	s_or_b32 s8, s8, s9
	s_or_b32 exec_lo, exec_lo, s20
	s_and_saveexec_b32 s9, s8
	s_cbranch_execnz .LBB4_215
	s_branch .LBB4_216
.LBB4_310:                              ;   in Loop: Header=BB4_130 Depth=3
	s_mov_b32 s8, -1
	s_mov_b32 s21, exec_lo
                                        ; implicit-def: $sgpr9
	v_cmpx_eq_u16_e64 0x80, v151
; %bb.311:                              ;   in Loop: Header=BB4_130 Depth=3
	s_mov_b32 s9, 0x7f800001
	s_xor_b32 s8, exec_lo, -1
; %bb.312:                              ;   in Loop: Header=BB4_130 Depth=3
	s_or_b32 exec_lo, exec_lo, s21
	s_delay_alu instid0(SALU_CYCLE_1)
	s_and_b32 s8, s8, exec_lo
                                        ; implicit-def: $vgpr151
	s_or_saveexec_b32 s20, s20
	v_mov_b32_e32 v150, s9
	s_xor_b32 exec_lo, exec_lo, s20
	s_cbranch_execz .LBB4_218
.LBB4_313:                              ;   in Loop: Header=BB4_130 Depth=3
	v_cmp_ne_u16_e64 vcc_lo, 0, v151
	v_mov_b32_e32 v150, 0
	s_and_not1_b32 s8, s8, exec_lo
	s_delay_alu instid0(VALU_DEP_2) | instskip(NEXT) | instid1(SALU_CYCLE_1)
	s_and_b32 s9, vcc_lo, exec_lo
	s_or_b32 s8, s8, s9
	s_or_b32 exec_lo, exec_lo, s20
	s_and_saveexec_b32 s9, s8
	s_cbranch_execnz .LBB4_219
	s_branch .LBB4_220
.LBB4_314:                              ;   in Loop: Header=BB4_130 Depth=3
	s_mov_b32 s8, -1
	s_mov_b32 s21, exec_lo
                                        ; implicit-def: $sgpr9
	v_cmpx_eq_u16_e64 0x80, v150
; %bb.315:                              ;   in Loop: Header=BB4_130 Depth=3
	s_mov_b32 s9, 0x7f800001
	s_xor_b32 s8, exec_lo, -1
; %bb.316:                              ;   in Loop: Header=BB4_130 Depth=3
	s_or_b32 exec_lo, exec_lo, s21
	s_delay_alu instid0(SALU_CYCLE_1)
	s_and_b32 s8, s8, exec_lo
	s_or_saveexec_b32 s20, s20
	v_mov_b32_e32 v99, s9
	s_xor_b32 exec_lo, exec_lo, s20
	s_cbranch_execz .LBB4_230
.LBB4_317:                              ;   in Loop: Header=BB4_130 Depth=3
	v_cmp_ne_u16_e64 vcc_lo, 0, v150
	v_mov_b32_e32 v99, 0
	s_and_not1_b32 s8, s8, exec_lo
	s_delay_alu instid0(VALU_DEP_2) | instskip(NEXT) | instid1(SALU_CYCLE_1)
	s_and_b32 s9, vcc_lo, exec_lo
	s_or_b32 s8, s8, s9
	s_or_b32 exec_lo, exec_lo, s20
	s_and_saveexec_b32 s9, s8
	s_cbranch_execnz .LBB4_231
	s_branch .LBB4_232
.LBB4_318:                              ;   in Loop: Header=BB4_130 Depth=3
	s_mov_b32 s8, -1
	s_mov_b32 s21, exec_lo
                                        ; implicit-def: $sgpr9
	v_cmpx_eq_u16_e64 0x80, v150
; %bb.319:                              ;   in Loop: Header=BB4_130 Depth=3
	s_mov_b32 s9, 0x7f800001
	s_xor_b32 s8, exec_lo, -1
; %bb.320:                              ;   in Loop: Header=BB4_130 Depth=3
	s_or_b32 exec_lo, exec_lo, s21
	s_delay_alu instid0(SALU_CYCLE_1)
	s_and_b32 s8, s8, exec_lo
	s_or_saveexec_b32 s20, s20
	v_mov_b32_e32 v151, s9
	s_xor_b32 exec_lo, exec_lo, s20
	s_cbranch_execz .LBB4_234
.LBB4_321:                              ;   in Loop: Header=BB4_130 Depth=3
	v_cmp_ne_u16_e64 vcc_lo, 0, v150
	v_mov_b32_e32 v151, 0
	s_and_not1_b32 s8, s8, exec_lo
	s_delay_alu instid0(VALU_DEP_2) | instskip(NEXT) | instid1(SALU_CYCLE_1)
	s_and_b32 s9, vcc_lo, exec_lo
	s_or_b32 s8, s8, s9
	s_or_b32 exec_lo, exec_lo, s20
	s_and_saveexec_b32 s9, s8
	s_cbranch_execnz .LBB4_235
	s_branch .LBB4_236
.LBB4_322:                              ;   in Loop: Header=BB4_130 Depth=3
	s_mov_b32 s8, -1
	s_mov_b32 s21, exec_lo
                                        ; implicit-def: $sgpr9
	v_cmpx_eq_u16_e64 0x80, v160
; %bb.323:                              ;   in Loop: Header=BB4_130 Depth=3
	s_mov_b32 s9, 0x7f800001
	s_xor_b32 s8, exec_lo, -1
; %bb.324:                              ;   in Loop: Header=BB4_130 Depth=3
	s_or_b32 exec_lo, exec_lo, s21
	s_delay_alu instid0(SALU_CYCLE_1)
	s_and_b32 s8, s8, exec_lo
                                        ; implicit-def: $vgpr160
	s_or_saveexec_b32 s20, s20
	v_mov_b32_e32 v150, s9
	s_xor_b32 exec_lo, exec_lo, s20
	s_cbranch_execz .LBB4_246
.LBB4_325:                              ;   in Loop: Header=BB4_130 Depth=3
	v_cmp_ne_u16_e64 vcc_lo, 0, v160
	v_mov_b32_e32 v150, 0
	s_and_not1_b32 s8, s8, exec_lo
	s_delay_alu instid0(VALU_DEP_2) | instskip(NEXT) | instid1(SALU_CYCLE_1)
	s_and_b32 s9, vcc_lo, exec_lo
	s_or_b32 s8, s8, s9
	s_or_b32 exec_lo, exec_lo, s20
	s_and_saveexec_b32 s9, s8
	s_cbranch_execnz .LBB4_247
	s_branch .LBB4_248
.LBB4_326:                              ;   in Loop: Header=BB4_130 Depth=3
	s_mov_b32 s8, -1
	s_mov_b32 s21, exec_lo
                                        ; implicit-def: $sgpr9
	v_cmpx_eq_u16_e64 0x80, v161
; %bb.327:                              ;   in Loop: Header=BB4_130 Depth=3
	s_mov_b32 s9, 0x7f800001
	s_xor_b32 s8, exec_lo, -1
; %bb.328:                              ;   in Loop: Header=BB4_130 Depth=3
	s_or_b32 exec_lo, exec_lo, s21
	s_delay_alu instid0(SALU_CYCLE_1)
	s_and_b32 s8, s8, exec_lo
                                        ; implicit-def: $vgpr161
	s_or_saveexec_b32 s20, s20
	v_mov_b32_e32 v160, s9
	s_xor_b32 exec_lo, exec_lo, s20
	s_cbranch_execz .LBB4_250
.LBB4_329:                              ;   in Loop: Header=BB4_130 Depth=3
	v_cmp_ne_u16_e64 vcc_lo, 0, v161
	v_mov_b32_e32 v160, 0
	s_and_not1_b32 s8, s8, exec_lo
	s_delay_alu instid0(VALU_DEP_2) | instskip(NEXT) | instid1(SALU_CYCLE_1)
	s_and_b32 s9, vcc_lo, exec_lo
	s_or_b32 s8, s8, s9
	s_or_b32 exec_lo, exec_lo, s20
	s_and_saveexec_b32 s9, s8
	s_cbranch_execnz .LBB4_251
	s_branch .LBB4_252
.LBB4_330:                              ;   in Loop: Header=BB4_130 Depth=3
	s_mov_b32 s8, -1
	s_mov_b32 s21, exec_lo
                                        ; implicit-def: $sgpr9
	v_cmpx_eq_u16_e64 0x80, v160
; %bb.331:                              ;   in Loop: Header=BB4_130 Depth=3
	s_mov_b32 s9, 0x7f800001
	s_xor_b32 s8, exec_lo, -1
; %bb.332:                              ;   in Loop: Header=BB4_130 Depth=3
	s_or_b32 exec_lo, exec_lo, s21
	s_delay_alu instid0(SALU_CYCLE_1)
	s_and_b32 s8, s8, exec_lo
	s_or_saveexec_b32 s20, s20
	v_mov_b32_e32 v151, s9
	s_xor_b32 exec_lo, exec_lo, s20
	s_cbranch_execz .LBB4_262
.LBB4_333:                              ;   in Loop: Header=BB4_130 Depth=3
	v_cmp_ne_u16_e64 vcc_lo, 0, v160
	v_mov_b32_e32 v151, 0
	s_and_not1_b32 s8, s8, exec_lo
	s_delay_alu instid0(VALU_DEP_2) | instskip(NEXT) | instid1(SALU_CYCLE_1)
	s_and_b32 s9, vcc_lo, exec_lo
	s_or_b32 s8, s8, s9
	s_or_b32 exec_lo, exec_lo, s20
	s_and_saveexec_b32 s9, s8
	s_cbranch_execnz .LBB4_263
	s_branch .LBB4_264
.LBB4_334:                              ;   in Loop: Header=BB4_130 Depth=3
	s_mov_b32 s8, -1
	s_mov_b32 s21, exec_lo
                                        ; implicit-def: $sgpr9
	v_cmpx_eq_u16_e32 0x80, v22
; %bb.335:                              ;   in Loop: Header=BB4_130 Depth=3
	s_mov_b32 s9, 0x7f800001
	s_xor_b32 s8, exec_lo, -1
; %bb.336:                              ;   in Loop: Header=BB4_130 Depth=3
	s_or_b32 exec_lo, exec_lo, s21
	s_delay_alu instid0(SALU_CYCLE_1)
	s_and_b32 s8, s8, exec_lo
	s_or_saveexec_b32 s20, s20
	v_mov_b32_e32 v160, s9
	s_xor_b32 exec_lo, exec_lo, s20
	s_cbranch_execz .LBB4_266
.LBB4_337:                              ;   in Loop: Header=BB4_130 Depth=3
	v_cmp_ne_u16_e32 vcc_lo, 0, v22
	v_mov_b32_e32 v160, 0
	s_and_not1_b32 s8, s8, exec_lo
	s_and_b32 s9, vcc_lo, exec_lo
	s_delay_alu instid0(SALU_CYCLE_1)
	s_or_b32 s8, s8, s9
	s_or_b32 exec_lo, exec_lo, s20
	s_and_saveexec_b32 s9, s8
	s_cbranch_execnz .LBB4_267
	s_branch .LBB4_268
.LBB4_338:                              ;   in Loop: Header=BB4_85 Depth=2
	s_or_b32 exec_lo, exec_lo, s19
.LBB4_339:                              ;   in Loop: Header=BB4_85 Depth=2
	s_delay_alu instid0(SALU_CYCLE_1)
	s_or_b32 exec_lo, exec_lo, s18
	s_and_saveexec_b32 s8, s3
	s_cbranch_execz .LBB4_361
; %bb.340:                              ;   in Loop: Header=BB4_85 Depth=2
	s_and_saveexec_b32 s9, s4
	s_delay_alu instid0(SALU_CYCLE_1)
	s_xor_b32 s9, exec_lo, s9
	s_cbranch_execz .LBB4_358
; %bb.341:                              ;   in Loop: Header=BB4_85 Depth=2
	s_and_saveexec_b32 s18, s5
	s_cbranch_execz .LBB4_357
; %bb.342:                              ;   in Loop: Header=BB4_85 Depth=2
	s_mov_b32 s20, exec_lo
	s_mov_b32 s19, exec_lo
	v_mbcnt_lo_u32_b32 v18, s20, 0
	s_waitcnt vmcnt(0) lgkmcnt(0)
	s_waitcnt_vscnt null, 0x0
	buffer_gl1_inv
	buffer_gl0_inv
	v_cmpx_eq_u32_e32 0, v18
	s_cbranch_execz .LBB4_344
; %bb.343:                              ;   in Loop: Header=BB4_85 Depth=2
	s_bcnt1_i32_b32 s20, s20
	s_delay_alu instid0(SALU_CYCLE_1)
	v_mov_b32_e32 v64, s20
	ds_add_u64 v0, v[64:65]
	s_cbranch_execnz .LBB4_682
.LBB4_344:                              ;   in Loop: Header=BB4_85 Depth=2
	s_or_b32 exec_lo, exec_lo, s19
	s_cbranch_execnz .LBB4_674
; %bb.345:                              ;   in Loop: Header=BB4_85 Depth=2
	ds_load_b64 v[18:19], v0
	v_add_co_u32 v2, vcc_lo, v2, v101
	v_add_co_ci_u32_e32 v3, vcc_lo, v3, v112, vcc_lo
	s_mov_b32 s19, exec_lo
	s_waitcnt lgkmcnt(0)
	s_delay_alu instid0(VALU_DEP_1)
	v_cmpx_lt_u64_e64 v[18:19], v[2:3]
	s_cbranch_execz .LBB4_356
; %bb.346:                              ;   in Loop: Header=BB4_85 Depth=2
	s_mov_b32 s20, 0
	s_mov_b32 s23, 0
                                        ; implicit-def: $sgpr21
                                        ; implicit-def: $sgpr22
	s_branch .LBB4_348
.LBB4_347:                              ;   in Loop: Header=BB4_348 Depth=3
	s_or_b32 exec_lo, exec_lo, s26
	s_delay_alu instid0(SALU_CYCLE_1) | instskip(NEXT) | instid1(SALU_CYCLE_1)
	s_and_b32 s24, exec_lo, s25
	s_or_b32 s20, s24, s20
	s_and_not1_b32 s21, s21, exec_lo
	s_and_b32 s24, s22, exec_lo
	s_delay_alu instid0(SALU_CYCLE_1)
	s_or_b32 s21, s21, s24
	s_and_not1_b32 exec_lo, exec_lo, s20
	s_cbranch_execz .LBB4_354
.LBB4_348:                              ;   Parent Loop BB4_32 Depth=1
                                        ;     Parent Loop BB4_85 Depth=2
                                        ; =>    This Inner Loop Header: Depth=3
	s_add_i32 s23, s23, 1
                                        ; implicit-def: $sgpr25
	s_delay_alu instid0(SALU_CYCLE_1) | instskip(SKIP_1) | instid1(SALU_CYCLE_1)
	s_cmpk_lg_i32 s23, 0x2710
	s_cselect_b32 s24, -1, 0
	s_and_b32 vcc_lo, exec_lo, s24
	s_cbranch_vccz .LBB4_352
.LBB4_349:                              ;   in Loop: Header=BB4_348 Depth=3
	s_and_not1_b32 s22, s22, exec_lo
	s_and_b32 s26, s25, exec_lo
	s_mov_b32 s25, -1
	s_or_b32 s22, s22, s26
	s_and_saveexec_b32 s26, s24
	s_cbranch_execz .LBB4_347
; %bb.350:                              ;   in Loop: Header=BB4_348 Depth=3
	s_sleep 1
	s_cbranch_execnz .LBB4_694
; %bb.351:                              ;   in Loop: Header=BB4_348 Depth=3
	ds_load_b64 v[18:19], v0
	s_and_not1_b32 s22, s22, exec_lo
	s_waitcnt lgkmcnt(0)
	v_cmp_ge_u64_e32 vcc_lo, v[18:19], v[2:3]
	s_or_not1_b32 s25, vcc_lo, exec_lo
	s_branch .LBB4_347
.LBB4_352:                              ;   in Loop: Header=BB4_348 Depth=3
	s_cbranch_execnz .LBB4_696
; %bb.353:                              ;   in Loop: Header=BB4_348 Depth=3
	ds_load_b64 v[18:19], v0
	s_and_not1_b32 s24, s24, exec_lo
	s_mov_b32 s23, 0
	s_mov_b32 s25, -1
	s_waitcnt lgkmcnt(0)
	flat_load_b32 v18, v[18:19] glc
	s_waitcnt vmcnt(0) lgkmcnt(0)
	buffer_gl1_inv
	buffer_gl0_inv
	v_cmp_eq_u32_e32 vcc_lo, 0, v18
	s_and_b32 s26, vcc_lo, exec_lo
	s_delay_alu instid0(SALU_CYCLE_1)
	s_or_b32 s24, s24, s26
	s_branch .LBB4_349
.LBB4_354:                              ;   in Loop: Header=BB4_85 Depth=2
	s_or_b32 exec_lo, exec_lo, s20
	s_and_saveexec_b32 s20, s21
	s_delay_alu instid0(SALU_CYCLE_1)
	s_xor_b32 s20, exec_lo, s20
	s_cbranch_execz .LBB4_356
; %bb.355:                              ;   in Loop: Header=BB4_85 Depth=2
	ds_store_b32 v0, v129
	s_cbranch_execnz .LBB4_715
.LBB4_356:                              ;   in Loop: Header=BB4_85 Depth=2
	s_or_b32 exec_lo, exec_lo, s19
	;;#ASMSTART
	s_wakeup
	;;#ASMEND
.LBB4_357:                              ;   in Loop: Header=BB4_85 Depth=2
	s_or_b32 exec_lo, exec_lo, s18
.LBB4_358:                              ;   in Loop: Header=BB4_85 Depth=2
	s_and_not1_saveexec_b32 s9, s9
	s_cbranch_execz .LBB4_360
; %bb.359:                              ;   in Loop: Header=BB4_85 Depth=2
	s_waitcnt vmcnt(0) lgkmcnt(0)
	s_waitcnt_vscnt null, 0x0
	buffer_gl1_inv
	buffer_gl0_inv
	s_barrier
.LBB4_360:                              ;   in Loop: Header=BB4_85 Depth=2
	s_or_b32 exec_lo, exec_lo, s9
.LBB4_361:                              ;   in Loop: Header=BB4_85 Depth=2
	s_delay_alu instid0(SALU_CYCLE_1)
	s_or_b32 exec_lo, exec_lo, s8
	s_and_saveexec_b32 s8, s6
	s_cbranch_execz .LBB4_363
; %bb.362:                              ;   in Loop: Header=BB4_85 Depth=2
	v_add_co_u32 v50, vcc_lo, v50, 1
	v_add_co_ci_u32_e32 v51, vcc_lo, 0, v51, vcc_lo
	s_waitcnt vmcnt(0) lgkmcnt(0)
	s_waitcnt_vscnt null, 0x0
	flat_store_b64 v[38:39], v[50:51]
.LBB4_363:                              ;   in Loop: Header=BB4_85 Depth=2
	s_or_b32 exec_lo, exec_lo, s8
	v_and_b32_e32 v64, 0x7ffffff8, v80
	v_cmp_gt_i32_e64 s8, s14, v84
	s_delay_alu instid0(VALU_DEP_2) | instskip(NEXT) | instid1(VALU_DEP_2)
	v_cmp_eq_u64_e32 vcc_lo, 0x7ffffff8, v[64:65]
	s_and_b32 s8, vcc_lo, s8
	s_delay_alu instid0(SALU_CYCLE_1)
	s_and_saveexec_b32 s9, s8
	s_cbranch_execz .LBB4_366
; %bb.364:                              ;   in Loop: Header=BB4_85 Depth=2
	v_and_b32_e32 v18, 7, v135
	v_ashrrev_i32_e32 v85, 31, v84
	v_mov_b32_e32 v22, v80
	s_mov_b32 s18, 0
	s_delay_alu instid0(VALU_DEP_3) | instskip(SKIP_2) | instid1(VALU_DEP_2)
	v_mul_lo_u32 v18, s14, v18
	s_waitcnt vmcnt(0) lgkmcnt(0)
	v_lshlrev_b64 v[20:21], 4, v[84:85]
	v_ashrrev_i32_e32 v19, 31, v18
	s_delay_alu instid0(VALU_DEP_1) | instskip(NEXT) | instid1(VALU_DEP_1)
	v_lshlrev_b64 v[18:19], 4, v[18:19]
	v_add_co_u32 v20, vcc_lo, v20, v18
	s_delay_alu instid0(VALU_DEP_2) | instskip(SKIP_2) | instid1(VALU_DEP_4)
	v_add_co_ci_u32_e32 v21, vcc_lo, v21, v19, vcc_lo
	v_add_co_u32 v18, vcc_lo, 0, 0
	v_add_co_ci_u32_e32 v19, vcc_lo, 1, v22, vcc_lo
	v_add_co_u32 v22, vcc_lo, v48, v20
	s_delay_alu instid0(VALU_DEP_4)
	v_add_co_ci_u32_e32 v23, vcc_lo, v49, v21, vcc_lo
.LBB4_365:                              ;   Parent Loop BB4_32 Depth=1
                                        ;     Parent Loop BB4_85 Depth=2
                                        ; =>    This Inner Loop Header: Depth=3
	s_delay_alu instid0(VALU_DEP_3) | instskip(SKIP_4) | instid1(VALU_DEP_1)
	v_dual_mov_b32 v20, v18 :: v_dual_mov_b32 v21, v19
	v_add_nc_u32_e32 v84, v84, v1
	global_store_b128 v[22:23], v[18:21], off
	v_cmp_le_i32_e32 vcc_lo, s14, v84
	v_add_co_u32 v22, s8, v22, v70
	v_add_co_ci_u32_e64 v23, s8, v23, v71, s8
	s_or_b32 s18, vcc_lo, s18
	s_delay_alu instid0(SALU_CYCLE_1)
	s_and_not1_b32 exec_lo, exec_lo, s18
	s_cbranch_execnz .LBB4_365
.LBB4_366:                              ;   in Loop: Header=BB4_85 Depth=2
	s_or_b32 exec_lo, exec_lo, s9
	v_add_co_u32 v34, vcc_lo, v34, 1
	v_add_co_ci_u32_e32 v35, vcc_lo, 0, v35, vcc_lo
	v_add_co_u32 v80, vcc_lo, v80, 1
	v_add_co_ci_u32_e32 v81, vcc_lo, 0, v81, vcc_lo
	v_add_nc_u16 v135, v135, 1
	s_add_i32 s17, s17, 1
	s_delay_alu instid0(SALU_CYCLE_1)
	s_cmp_eq_u32 s17, s10
	s_cbranch_scc0 .LBB4_85
.LBB4_367:                              ;   in Loop: Header=BB4_32 Depth=1
	s_delay_alu instid0(VALU_DEP_1)
	v_dual_mov_b32 v22, v80 :: v_dual_mov_b32 v23, v81
	s_and_saveexec_b32 s9, s7
	s_cbranch_execz .LBB4_599
; %bb.368:                              ;   in Loop: Header=BB4_32 Depth=1
	flat_load_b32 v64, v[24:25]
	v_and_b32_e32 v18, 7, v34
	s_waitcnt vmcnt(1) lgkmcnt(1)
	v_add_co_u32 v20, vcc_lo, v12, v133
	v_add_co_ci_u32_e32 v21, vcc_lo, v13, v134, vcc_lo
	s_delay_alu instid0(VALU_DEP_3) | instskip(SKIP_1) | instid1(VALU_DEP_1)
	v_mul_lo_u32 v18, v18, s14
	s_mov_b32 s17, 0
	v_ashrrev_i32_e32 v19, 31, v18
	s_delay_alu instid0(VALU_DEP_1)
	v_lshlrev_b64 v[18:19], 4, v[18:19]
	s_waitcnt vmcnt(0) lgkmcnt(0)
	v_ashrrev_i32_e32 v80, 31, v64
	v_mul_lo_u32 v84, v100, v64
	v_mad_u64_u32 v[82:83], null, v30, v64, v[20:21]
	v_add_nc_u32_e32 v64, 1, v34
	s_delay_alu instid0(VALU_DEP_4)
	v_mul_lo_u32 v20, v30, v80
	v_add_co_u32 v80, vcc_lo, v117, v133
	v_add_co_ci_u32_e32 v81, vcc_lo, v118, v134, vcc_lo
	v_add_co_u32 v85, vcc_lo, v32, v18
	v_add_co_ci_u32_e32 v86, vcc_lo, v33, v19, vcc_lo
	v_add3_u32 v20, v84, v83, v20
	v_add_co_u32 v87, vcc_lo, v82, v102
	v_mov_b32_e32 v82, v4
	s_delay_alu instid0(VALU_DEP_3)
	v_add_co_ci_u32_e32 v96, vcc_lo, v20, v113, vcc_lo
	s_branch .LBB4_370
.LBB4_369:                              ;   in Loop: Header=BB4_370 Depth=2
	v_sub_nc_u32_e32 v131, v131, v103
	v_add_co_u32 v87, vcc_lo, v87, v103
	v_add_co_ci_u32_e32 v96, vcc_lo, v96, v114, vcc_lo
	s_delay_alu instid0(VALU_DEP_3) | instskip(SKIP_1) | instid1(VALU_DEP_1)
	v_cmp_gt_i32_e32 vcc_lo, 1, v131
	v_add_co_u32 v80, s7, v80, v103
	v_add_co_ci_u32_e64 v81, s7, v81, v114, s7
	v_add_nc_u32_e32 v82, v82, v1
	s_or_b32 s17, vcc_lo, s17
	s_delay_alu instid0(SALU_CYCLE_1)
	s_and_not1_b32 exec_lo, exec_lo, s17
	s_cbranch_execz .LBB4_598
.LBB4_370:                              ;   Parent Loop BB4_32 Depth=1
                                        ; =>  This Loop Header: Depth=2
                                        ;       Child Loop BB4_378 Depth 3
	s_delay_alu instid0(VALU_DEP_1)
	v_dual_mov_b32 v19, v96 :: v_dual_and_b32 v18, -4, v87
	v_min_u32_e32 v20, 8, v131
	v_dual_mov_b32 v98, 0 :: v_dual_and_b32 v21, 3, v87
	v_mov_b32_e32 v97, 0
	flat_load_b32 v99, v[18:19] glc
	v_add_co_u32 v20, s7, v21, v20
	s_delay_alu instid0(VALU_DEP_1) | instskip(SKIP_1) | instid1(VALU_DEP_1)
	v_add_co_ci_u32_e64 v21, null, 0, 0, s7
	s_mov_b32 s7, exec_lo
	v_cmpx_lt_u64_e32 4, v[20:21]
	s_cbranch_execz .LBB4_372
; %bb.371:                              ;   in Loop: Header=BB4_370 Depth=2
	flat_load_b32 v98, v[18:19] offset:4 glc
.LBB4_372:                              ;   in Loop: Header=BB4_370 Depth=2
	s_or_b32 exec_lo, exec_lo, s7
	s_delay_alu instid0(SALU_CYCLE_1)
	s_mov_b32 s7, exec_lo
	v_cmpx_lt_u64_e32 8, v[20:21]
	s_cbranch_execz .LBB4_374
; %bb.373:                              ;   in Loop: Header=BB4_370 Depth=2
	flat_load_b32 v97, v[18:19] offset:8 glc
.LBB4_374:                              ;   in Loop: Header=BB4_370 Depth=2
	s_or_b32 exec_lo, exec_lo, s7
	v_ashrrev_i32_e32 v83, 31, v82
	s_delay_alu instid0(VALU_DEP_1) | instskip(NEXT) | instid1(VALU_DEP_1)
	v_lshlrev_b64 v[18:19], 4, v[82:83]
	v_add_co_u32 v83, vcc_lo, v85, v18
	s_delay_alu instid0(VALU_DEP_2)
	v_add_co_ci_u32_e32 v84, vcc_lo, v86, v19, vcc_lo
	v_cmp_eq_u32_e32 vcc_lo, 0, v130
	;;#ASMSTART
	global_load_b128 v[18:21], v[83:84], off glc slc dlc
s_waitcnt vmcnt(0)

	;;#ASMEND
	s_and_saveexec_b32 s18, vcc_lo
	s_cbranch_execz .LBB4_388
; %bb.375:                              ;   in Loop: Header=BB4_370 Depth=2
	v_cmp_ne_u32_e64 s7, v64, v19
	v_cmp_ne_u32_e64 s8, v64, v21
	v_mov_b32_e32 v130, 0
	s_delay_alu instid0(VALU_DEP_2) | instskip(NEXT) | instid1(SALU_CYCLE_1)
	s_or_b32 s7, s7, s8
	s_and_saveexec_b32 s8, s7
	s_cbranch_execz .LBB4_387
; %bb.376:                              ;   in Loop: Header=BB4_370 Depth=2
	v_cndmask_b32_e64 v132, 0, 1, vcc_lo
	s_mov_b32 s19, 0
                                        ; implicit-def: $sgpr20
                                        ; implicit-def: $sgpr21
	s_branch .LBB4_378
.LBB4_377:                              ;   in Loop: Header=BB4_378 Depth=3
	s_or_b32 exec_lo, exec_lo, s22
	s_delay_alu instid0(SALU_CYCLE_1) | instskip(NEXT) | instid1(SALU_CYCLE_1)
	s_and_b32 s7, exec_lo, s7
	s_or_b32 s19, s7, s19
	s_and_not1_b32 s7, s20, exec_lo
	s_and_b32 s20, s21, exec_lo
	s_delay_alu instid0(SALU_CYCLE_1)
	s_or_b32 s20, s7, s20
	s_and_not1_b32 exec_lo, exec_lo, s19
	s_cbranch_execz .LBB4_386
.LBB4_378:                              ;   Parent Loop BB4_32 Depth=1
                                        ;     Parent Loop BB4_370 Depth=2
                                        ; =>    This Inner Loop Header: Depth=3
	s_delay_alu instid0(VALU_DEP_1)
	v_add_nc_u32_e32 v132, 1, v132
	v_mov_b32_e32 v130, 0
	s_mov_b32 s7, -1
	s_mov_b32 s23, -1
	s_mov_b32 s22, exec_lo
	;;#ASMSTART
	global_load_b128 v[18:21], v[83:84], off glc slc dlc
s_waitcnt vmcnt(0)

	;;#ASMEND
	v_cmpx_eq_u32_e32 0x2710, v132
	s_cbranch_execz .LBB4_384
; %bb.379:                              ;   in Loop: Header=BB4_378 Depth=3
	s_cbranch_execnz .LBB4_641
; %bb.380:                              ;   in Loop: Header=BB4_378 Depth=3
	ds_load_b64 v[132:133], v0
	v_mov_b32_e32 v130, 0
	s_mov_b32 s24, -1
	s_mov_b32 s23, exec_lo
	s_waitcnt vmcnt(0) lgkmcnt(0)
	s_waitcnt_vscnt null, 0x0
	flat_load_b32 v133, v[132:133] glc
	s_waitcnt vmcnt(0) lgkmcnt(0)
	buffer_gl1_inv
	buffer_gl0_inv
	v_mov_b32_e32 v132, 0
	v_cmpx_ne_u32_e32 0, v133
	s_cbranch_execz .LBB4_383
; %bb.381:                              ;   in Loop: Header=BB4_378 Depth=3
	ds_store_b32 v0, v133
	s_cbranch_execnz .LBB4_653
; %bb.382:                              ;   in Loop: Header=BB4_378 Depth=3
	v_mov_b32_e32 v130, 1
	s_xor_b32 s24, exec_lo, -1
.LBB4_383:                              ;   in Loop: Header=BB4_378 Depth=3
	s_or_b32 exec_lo, exec_lo, s23
	s_delay_alu instid0(SALU_CYCLE_1)
	s_or_not1_b32 s23, s24, exec_lo
.LBB4_384:                              ;   in Loop: Header=BB4_378 Depth=3
	s_or_b32 exec_lo, exec_lo, s22
	s_delay_alu instid0(SALU_CYCLE_1)
	s_or_b32 s21, s21, exec_lo
	s_and_saveexec_b32 s22, s23
	s_cbranch_execz .LBB4_377
; %bb.385:                              ;   in Loop: Header=BB4_378 Depth=3
	v_cmp_eq_u32_e32 vcc_lo, v64, v19
	v_cmp_eq_u32_e64 s7, v64, v21
	s_and_not1_b32 s21, s21, exec_lo
	s_delay_alu instid0(VALU_DEP_1) | instskip(NEXT) | instid1(SALU_CYCLE_1)
	s_and_b32 s7, vcc_lo, s7
	s_or_not1_b32 s7, s7, exec_lo
	s_branch .LBB4_377
.LBB4_386:                              ;   in Loop: Header=BB4_370 Depth=2
	s_or_b32 exec_lo, exec_lo, s19
	s_xor_b32 s7, s20, -1
	s_delay_alu instid0(SALU_CYCLE_1) | instskip(NEXT) | instid1(SALU_CYCLE_1)
	s_and_saveexec_b32 s19, s7
	s_xor_b32 s7, exec_lo, s19
	s_delay_alu instid0(SALU_CYCLE_1) | instskip(NEXT) | instid1(SALU_CYCLE_1)
	s_and_not1_saveexec_b32 s7, s7
	s_or_b32 exec_lo, exec_lo, s7
.LBB4_387:                              ;   in Loop: Header=BB4_370 Depth=2
	s_delay_alu instid0(SALU_CYCLE_1)
	s_or_b32 exec_lo, exec_lo, s8
.LBB4_388:                              ;   in Loop: Header=BB4_370 Depth=2
	s_delay_alu instid0(SALU_CYCLE_1) | instskip(SKIP_3) | instid1(VALU_DEP_1)
	s_or_b32 exec_lo, exec_lo, s18
	v_and_b32_e32 v19, 0xff, v18
	s_mov_b32 s7, 0
	s_mov_b32 s18, exec_lo
                                        ; implicit-def: $sgpr8
	v_cmpx_lt_i16_e32 0x7f, v19
	s_xor_b32 s18, exec_lo, s18
	s_cbranch_execnz .LBB4_534
; %bb.389:                              ;   in Loop: Header=BB4_370 Depth=2
	s_or_saveexec_b32 s18, s18
	v_mov_b32_e32 v21, s8
	s_xor_b32 exec_lo, exec_lo, s18
	s_cbranch_execnz .LBB4_537
.LBB4_390:                              ;   in Loop: Header=BB4_370 Depth=2
	s_or_b32 exec_lo, exec_lo, s18
	s_and_saveexec_b32 s8, s7
	s_cbranch_execz .LBB4_392
.LBB4_391:                              ;   in Loop: Header=BB4_370 Depth=2
	v_and_b32_e32 v19, 7, v18
	v_bfe_u32 v84, v18, 3, 4
	s_delay_alu instid0(VALU_DEP_2) | instskip(NEXT) | instid1(VALU_DEP_2)
	v_clz_i32_u32_e32 v21, v19
	v_cmp_eq_u32_e32 vcc_lo, 0, v84
	s_delay_alu instid0(VALU_DEP_2) | instskip(NEXT) | instid1(VALU_DEP_1)
	v_min_u32_e32 v21, 32, v21
	v_subrev_nc_u32_e32 v83, 28, v21
	v_sub_nc_u32_e32 v21, 29, v21
	v_lshlrev_b32_e32 v132, 24, v18
	s_delay_alu instid0(VALU_DEP_3) | instskip(NEXT) | instid1(VALU_DEP_3)
	v_lshlrev_b32_e32 v83, v83, v18
	v_cndmask_b32_e32 v21, v84, v21, vcc_lo
	s_delay_alu instid0(VALU_DEP_2) | instskip(NEXT) | instid1(VALU_DEP_2)
	v_and_b32_e32 v83, 7, v83
	v_lshl_add_u32 v21, v21, 23, 0x3b800000
	s_delay_alu instid0(VALU_DEP_2) | instskip(SKIP_1) | instid1(VALU_DEP_2)
	v_cndmask_b32_e32 v19, v19, v83, vcc_lo
	v_and_b32_e32 v83, 0x80000000, v132
	v_lshlrev_b32_e32 v19, 20, v19
	s_delay_alu instid0(VALU_DEP_1)
	v_or3_b32 v21, v83, v21, v19
.LBB4_392:                              ;   in Loop: Header=BB4_370 Depth=2
	s_or_b32 exec_lo, exec_lo, s8
	v_lshlrev_b32_e32 v19, 3, v87
	s_mov_b32 s7, 0
	s_mov_b32 s18, exec_lo
                                        ; implicit-def: $sgpr8
	s_waitcnt vmcnt(0) lgkmcnt(0)
	s_delay_alu instid0(VALU_DEP_1) | instskip(NEXT) | instid1(VALU_DEP_1)
	v_alignbit_b32 v99, v98, v99, v19
	v_and_b32_e32 v84, 0xff, v99
	s_delay_alu instid0(VALU_DEP_1)
	v_cmpx_lt_i16_e32 0x7f, v84
	s_xor_b32 s18, exec_lo, s18
	s_cbranch_execnz .LBB4_538
; %bb.393:                              ;   in Loop: Header=BB4_370 Depth=2
	s_or_saveexec_b32 s18, s18
	v_mov_b32_e32 v83, s8
	s_xor_b32 exec_lo, exec_lo, s18
	s_cbranch_execnz .LBB4_541
.LBB4_394:                              ;   in Loop: Header=BB4_370 Depth=2
	s_or_b32 exec_lo, exec_lo, s18
	s_and_saveexec_b32 s8, s7
	s_cbranch_execz .LBB4_396
.LBB4_395:                              ;   in Loop: Header=BB4_370 Depth=2
	v_bfe_u32 v133, v99, 3, 4
	s_delay_alu instid0(VALU_DEP_1) | instskip(SKIP_1) | instid1(VALU_DEP_1)
	v_cmp_eq_u32_e32 vcc_lo, 0, v133
	v_and_b32_e32 v83, 7, v99
	v_clz_i32_u32_e32 v84, v83
	s_delay_alu instid0(VALU_DEP_1) | instskip(NEXT) | instid1(VALU_DEP_1)
	v_min_u32_e32 v84, 32, v84
	v_subrev_nc_u32_e32 v132, 28, v84
	v_sub_nc_u32_e32 v84, 29, v84
	s_delay_alu instid0(VALU_DEP_2) | instskip(NEXT) | instid1(VALU_DEP_2)
	v_lshlrev_b32_e32 v132, v132, v99
	v_cndmask_b32_e32 v84, v133, v84, vcc_lo
	s_delay_alu instid0(VALU_DEP_2) | instskip(SKIP_1) | instid1(VALU_DEP_3)
	v_and_b32_e32 v132, 7, v132
	v_lshlrev_b32_e32 v134, 24, v99
	v_lshl_add_u32 v84, v84, 23, 0x3b800000
	s_delay_alu instid0(VALU_DEP_2) | instskip(NEXT) | instid1(VALU_DEP_1)
	v_dual_cndmask_b32 v83, v83, v132 :: v_dual_and_b32 v132, 0x80000000, v134
	v_lshlrev_b32_e32 v83, 20, v83
	s_delay_alu instid0(VALU_DEP_1)
	v_or3_b32 v83, v132, v84, v83
.LBB4_396:                              ;   in Loop: Header=BB4_370 Depth=2
	s_or_b32 exec_lo, exec_lo, s8
	s_delay_alu instid0(VALU_DEP_1) | instskip(NEXT) | instid1(VALU_DEP_1)
	v_add_f32_e32 v83, v21, v83
	v_and_b32_e32 v21, 0x7f800000, v83
	s_delay_alu instid0(VALU_DEP_1)
	v_cmp_ne_u32_e32 vcc_lo, 0x7f800000, v21
	v_mov_b32_e32 v21, 0x80
	s_and_saveexec_b32 s8, vcc_lo
	s_cbranch_execz .LBB4_404
; %bb.397:                              ;   in Loop: Header=BB4_370 Depth=2
	v_mov_b32_e32 v21, 0
	s_mov_b32 s18, exec_lo
	v_cmpx_ne_u32_e32 0, v83
	s_cbranch_execz .LBB4_403
; %bb.398:                              ;   in Loop: Header=BB4_370 Depth=2
	v_bfe_u32 v21, v83, 23, 8
	v_and_b32_e32 v84, 0x7fffff, v83
	s_delay_alu instid0(VALU_DEP_2) | instskip(SKIP_1) | instid1(VALU_DEP_3)
	v_sub_nc_u32_e32 v132, 0x78, v21
	v_cmp_gt_u32_e32 vcc_lo, 0x79, v21
	v_or_b32_e32 v133, 0x800000, v84
	s_delay_alu instid0(VALU_DEP_3) | instskip(SKIP_2) | instid1(VALU_DEP_3)
	v_cndmask_b32_e32 v132, 0, v132, vcc_lo
	v_cmp_eq_u32_e32 vcc_lo, 0, v21
	v_add_nc_u32_e32 v21, 0xffffff89, v21
	v_cndmask_b32_e64 v132, v132, 0x77, vcc_lo
	v_cndmask_b32_e32 v84, v133, v84, vcc_lo
	s_delay_alu instid0(VALU_DEP_3) | instskip(NEXT) | instid1(VALU_DEP_3)
	v_cndmask_b32_e64 v21, v21, 0xffffff8a, vcc_lo
	v_lshl_add_u32 v133, 0x100000, v132, -1
	s_delay_alu instid0(VALU_DEP_3) | instskip(SKIP_1) | instid1(VALU_DEP_4)
	v_lshrrev_b32_e32 v134, v132, v84
	v_lshlrev_b32_e64 v144, v132, 0x80000
	v_add_nc_u32_e32 v132, v132, v21
	s_delay_alu instid0(VALU_DEP_4) | instskip(NEXT) | instid1(VALU_DEP_4)
	v_and_b32_e32 v84, v133, v84
	v_bfe_u32 v135, v134, 20, 1
	s_delay_alu instid0(VALU_DEP_2) | instskip(NEXT) | instid1(VALU_DEP_2)
	v_cmp_eq_u32_e64 s7, v84, v144
	v_add_nc_u32_e32 v133, -1, v135
	s_delay_alu instid0(VALU_DEP_1) | instskip(SKIP_2) | instid1(VALU_DEP_2)
	v_cndmask_b32_e64 v84, 0, v133, s7
	v_lshrrev_b32_e32 v133, 23, v134
	s_mov_b32 s7, exec_lo
	v_add_nc_u32_e32 v84, v84, v134
	s_delay_alu instid0(VALU_DEP_2) | instskip(NEXT) | instid1(VALU_DEP_2)
	v_xor_b32_e32 v133, 1, v133
	v_and_b32_e32 v21, 0xfffff, v84
	s_delay_alu instid0(VALU_DEP_1) | instskip(NEXT) | instid1(VALU_DEP_3)
	v_add_nc_u32_e32 v84, v21, v134
                                        ; implicit-def: $vgpr21
	v_cmpx_ne_u32_e64 v132, v133
	s_xor_b32 s7, exec_lo, s7
; %bb.399:                              ;   in Loop: Header=BB4_370 Depth=2
	s_delay_alu instid0(VALU_DEP_2) | instskip(SKIP_2) | instid1(VALU_DEP_2)
	v_cmp_lt_u32_e32 vcc_lo, 0xffffff, v84
	v_sub_nc_u32_e32 v21, v132, v133
	v_cndmask_b32_e64 v132, 0, 1, vcc_lo
	v_add_co_ci_u32_e32 v21, vcc_lo, 0, v21, vcc_lo
	s_delay_alu instid0(VALU_DEP_2)
	v_lshrrev_b32_e32 v84, v132, v84
; %bb.400:                              ;   in Loop: Header=BB4_370 Depth=2
	s_and_not1_saveexec_b32 s7, s7
; %bb.401:                              ;   in Loop: Header=BB4_370 Depth=2
	s_delay_alu instid0(VALU_DEP_1)
	v_bfe_u32 v21, v84, 23, 1
; %bb.402:                              ;   in Loop: Header=BB4_370 Depth=2
	s_or_b32 exec_lo, exec_lo, s7
	v_lshrrev_b32_e32 v84, 20, v84
	s_delay_alu instid0(VALU_DEP_2) | instskip(SKIP_2) | instid1(VALU_DEP_2)
	v_cmp_gt_i32_e32 vcc_lo, 16, v21
	v_lshrrev_b32_e32 v83, 24, v83
	v_min_i32_e32 v132, 15, v21
	v_dual_cndmask_b32 v84, 7, v84 :: v_dual_and_b32 v83, 0x80, v83
	s_delay_alu instid0(VALU_DEP_1) | instskip(SKIP_1) | instid1(VALU_DEP_2)
	v_or_b32_e32 v21, v21, v84
	v_and_b32_e32 v133, 7, v84
	v_cmp_ne_u32_e32 vcc_lo, 0, v21
	v_lshlrev_b32_e32 v132, 3, v132
	s_delay_alu instid0(VALU_DEP_1) | instskip(NEXT) | instid1(VALU_DEP_1)
	v_or3_b32 v83, v132, v83, v133
	v_cndmask_b32_e32 v21, 0, v83, vcc_lo
.LBB4_403:                              ;   in Loop: Header=BB4_370 Depth=2
	s_or_b32 exec_lo, exec_lo, s18
.LBB4_404:                              ;   in Loop: Header=BB4_370 Depth=2
	s_delay_alu instid0(SALU_CYCLE_1) | instskip(SKIP_3) | instid1(VALU_DEP_1)
	s_or_b32 exec_lo, exec_lo, s8
	v_lshrrev_b16 v84, 8, v18
	s_mov_b32 s7, 0
	s_mov_b32 s18, exec_lo
                                        ; implicit-def: $sgpr8
	v_cmpx_lt_i16_e32 0x7f, v84
	s_xor_b32 s18, exec_lo, s18
	s_cbranch_execnz .LBB4_542
; %bb.405:                              ;   in Loop: Header=BB4_370 Depth=2
	s_or_saveexec_b32 s18, s18
	v_mov_b32_e32 v83, s8
	s_xor_b32 exec_lo, exec_lo, s18
	s_cbranch_execnz .LBB4_545
.LBB4_406:                              ;   in Loop: Header=BB4_370 Depth=2
	s_or_b32 exec_lo, exec_lo, s18
	s_and_saveexec_b32 s8, s7
	s_cbranch_execz .LBB4_408
.LBB4_407:                              ;   in Loop: Header=BB4_370 Depth=2
	v_and_b32_e32 v83, 0xffff, v84
	v_lshlrev_b32_e32 v84, 24, v84
	s_delay_alu instid0(VALU_DEP_2) | instskip(NEXT) | instid1(VALU_DEP_2)
	v_and_b32_e32 v132, 7, v83
	v_and_b32_e32 v84, 0x80000000, v84
	s_delay_alu instid0(VALU_DEP_2) | instskip(NEXT) | instid1(VALU_DEP_1)
	v_clz_i32_u32_e32 v133, v132
	v_min_u32_e32 v133, 32, v133
	s_delay_alu instid0(VALU_DEP_1) | instskip(SKIP_1) | instid1(VALU_DEP_2)
	v_subrev_nc_u32_e32 v134, 28, v133
	v_sub_nc_u32_e32 v133, 29, v133
	v_lshlrev_b32_e32 v134, v134, v83
	v_bfe_u32 v83, v83, 3, 4
	s_delay_alu instid0(VALU_DEP_2) | instskip(NEXT) | instid1(VALU_DEP_2)
	v_and_b32_e32 v134, 7, v134
	v_cmp_eq_u32_e32 vcc_lo, 0, v83
	s_delay_alu instid0(VALU_DEP_2) | instskip(NEXT) | instid1(VALU_DEP_1)
	v_dual_cndmask_b32 v83, v83, v133 :: v_dual_cndmask_b32 v132, v132, v134
	v_lshl_add_u32 v83, v83, 23, 0x3b800000
	s_delay_alu instid0(VALU_DEP_2) | instskip(NEXT) | instid1(VALU_DEP_1)
	v_lshlrev_b32_e32 v132, 20, v132
	v_or3_b32 v83, v84, v83, v132
.LBB4_408:                              ;   in Loop: Header=BB4_370 Depth=2
	s_or_b32 exec_lo, exec_lo, s8
	v_lshrrev_b16 v84, 8, v99
	s_mov_b32 s7, 0
	s_mov_b32 s18, exec_lo
                                        ; implicit-def: $sgpr8
	s_delay_alu instid0(VALU_DEP_1)
	v_cmpx_lt_i16_e32 0x7f, v84
	s_xor_b32 s18, exec_lo, s18
	s_cbranch_execnz .LBB4_546
; %bb.409:                              ;   in Loop: Header=BB4_370 Depth=2
	s_or_saveexec_b32 s18, s18
	v_mov_b32_e32 v132, s8
	s_xor_b32 exec_lo, exec_lo, s18
	s_cbranch_execnz .LBB4_549
.LBB4_410:                              ;   in Loop: Header=BB4_370 Depth=2
	s_or_b32 exec_lo, exec_lo, s18
	s_and_saveexec_b32 s8, s7
	s_cbranch_execz .LBB4_412
.LBB4_411:                              ;   in Loop: Header=BB4_370 Depth=2
	v_and_b32_e32 v132, 0xffff, v84
	v_lshlrev_b32_e32 v84, 24, v84
	s_delay_alu instid0(VALU_DEP_2) | instskip(NEXT) | instid1(VALU_DEP_2)
	v_and_b32_e32 v133, 7, v132
	v_and_b32_e32 v84, 0x80000000, v84
	s_delay_alu instid0(VALU_DEP_2) | instskip(NEXT) | instid1(VALU_DEP_1)
	v_clz_i32_u32_e32 v134, v133
	v_min_u32_e32 v134, 32, v134
	s_delay_alu instid0(VALU_DEP_1) | instskip(SKIP_1) | instid1(VALU_DEP_2)
	v_subrev_nc_u32_e32 v135, 28, v134
	v_sub_nc_u32_e32 v134, 29, v134
	v_lshlrev_b32_e32 v135, v135, v132
	v_bfe_u32 v132, v132, 3, 4
	s_delay_alu instid0(VALU_DEP_2) | instskip(NEXT) | instid1(VALU_DEP_2)
	v_and_b32_e32 v135, 7, v135
	v_cmp_eq_u32_e32 vcc_lo, 0, v132
	s_delay_alu instid0(VALU_DEP_2) | instskip(NEXT) | instid1(VALU_DEP_1)
	v_dual_cndmask_b32 v132, v132, v134 :: v_dual_cndmask_b32 v133, v133, v135
	v_lshl_add_u32 v132, v132, 23, 0x3b800000
	s_delay_alu instid0(VALU_DEP_2) | instskip(NEXT) | instid1(VALU_DEP_1)
	v_lshlrev_b32_e32 v133, 20, v133
	v_or3_b32 v132, v84, v132, v133
.LBB4_412:                              ;   in Loop: Header=BB4_370 Depth=2
	s_or_b32 exec_lo, exec_lo, s8
	s_delay_alu instid0(VALU_DEP_1) | instskip(NEXT) | instid1(VALU_DEP_1)
	v_add_f32_e32 v84, v83, v132
	v_and_b32_e32 v83, 0x7f800000, v84
	s_delay_alu instid0(VALU_DEP_1)
	v_cmp_ne_u32_e32 vcc_lo, 0x7f800000, v83
	v_mov_b32_e32 v83, 0x80
	s_and_saveexec_b32 s8, vcc_lo
	s_cbranch_execz .LBB4_420
; %bb.413:                              ;   in Loop: Header=BB4_370 Depth=2
	v_mov_b32_e32 v83, 0
	s_mov_b32 s18, exec_lo
	v_cmpx_ne_u32_e32 0, v84
	s_cbranch_execz .LBB4_419
; %bb.414:                              ;   in Loop: Header=BB4_370 Depth=2
	v_bfe_u32 v83, v84, 23, 8
	s_delay_alu instid0(VALU_DEP_1) | instskip(SKIP_1) | instid1(VALU_DEP_2)
	v_sub_nc_u32_e32 v133, 0x78, v83
	v_cmp_gt_u32_e32 vcc_lo, 0x79, v83
	v_dual_cndmask_b32 v133, 0, v133 :: v_dual_and_b32 v132, 0x7fffff, v84
	s_delay_alu instid0(VALU_DEP_1) | instskip(SKIP_2) | instid1(VALU_DEP_4)
	v_or_b32_e32 v134, 0x800000, v132
	v_cmp_eq_u32_e32 vcc_lo, 0, v83
	v_add_nc_u32_e32 v83, 0xffffff89, v83
	v_cndmask_b32_e64 v133, v133, 0x77, vcc_lo
	s_delay_alu instid0(VALU_DEP_4) | instskip(NEXT) | instid1(VALU_DEP_3)
	v_cndmask_b32_e32 v132, v134, v132, vcc_lo
	v_cndmask_b32_e64 v83, v83, 0xffffff8a, vcc_lo
	s_delay_alu instid0(VALU_DEP_3) | instskip(NEXT) | instid1(VALU_DEP_3)
	v_lshl_add_u32 v134, 0x100000, v133, -1
	v_lshrrev_b32_e32 v135, v133, v132
	v_lshlrev_b32_e64 v145, v133, 0x80000
	s_delay_alu instid0(VALU_DEP_4) | instskip(NEXT) | instid1(VALU_DEP_4)
	v_add_nc_u32_e32 v133, v133, v83
	v_and_b32_e32 v132, v134, v132
	s_delay_alu instid0(VALU_DEP_4) | instskip(NEXT) | instid1(VALU_DEP_2)
	v_bfe_u32 v144, v135, 20, 1
	v_cmp_eq_u32_e64 s7, v132, v145
	s_delay_alu instid0(VALU_DEP_2) | instskip(NEXT) | instid1(VALU_DEP_1)
	v_add_nc_u32_e32 v134, -1, v144
	v_cndmask_b32_e64 v132, 0, v134, s7
	v_lshrrev_b32_e32 v134, 23, v135
	s_mov_b32 s7, exec_lo
	s_delay_alu instid0(VALU_DEP_2) | instskip(NEXT) | instid1(VALU_DEP_2)
	v_add_nc_u32_e32 v132, v132, v135
	v_xor_b32_e32 v134, 1, v134
	s_delay_alu instid0(VALU_DEP_2) | instskip(NEXT) | instid1(VALU_DEP_1)
	v_and_b32_e32 v83, 0xfffff, v132
	v_add_nc_u32_e32 v132, v83, v135
                                        ; implicit-def: $vgpr83
	s_delay_alu instid0(VALU_DEP_3)
	v_cmpx_ne_u32_e64 v133, v134
	s_xor_b32 s7, exec_lo, s7
; %bb.415:                              ;   in Loop: Header=BB4_370 Depth=2
	s_delay_alu instid0(VALU_DEP_2) | instskip(SKIP_2) | instid1(VALU_DEP_2)
	v_cmp_lt_u32_e32 vcc_lo, 0xffffff, v132
	v_sub_nc_u32_e32 v83, v133, v134
	v_cndmask_b32_e64 v133, 0, 1, vcc_lo
	v_add_co_ci_u32_e32 v83, vcc_lo, 0, v83, vcc_lo
	s_delay_alu instid0(VALU_DEP_2)
	v_lshrrev_b32_e32 v132, v133, v132
; %bb.416:                              ;   in Loop: Header=BB4_370 Depth=2
	s_and_not1_saveexec_b32 s7, s7
; %bb.417:                              ;   in Loop: Header=BB4_370 Depth=2
	s_delay_alu instid0(VALU_DEP_1)
	v_bfe_u32 v83, v132, 23, 1
; %bb.418:                              ;   in Loop: Header=BB4_370 Depth=2
	s_or_b32 exec_lo, exec_lo, s7
	v_lshrrev_b32_e32 v132, 20, v132
	s_delay_alu instid0(VALU_DEP_2) | instskip(SKIP_2) | instid1(VALU_DEP_4)
	v_cmp_gt_i32_e32 vcc_lo, 16, v83
	v_lshrrev_b32_e32 v84, 24, v84
	v_min_i32_e32 v133, 15, v83
	v_cndmask_b32_e32 v132, 7, v132, vcc_lo
	s_delay_alu instid0(VALU_DEP_3) | instskip(NEXT) | instid1(VALU_DEP_3)
	v_and_b32_e32 v84, 0x80, v84
	v_lshlrev_b32_e32 v133, 3, v133
	s_delay_alu instid0(VALU_DEP_3) | instskip(SKIP_1) | instid1(VALU_DEP_2)
	v_and_b32_e32 v134, 7, v132
	v_or_b32_e32 v83, v83, v132
	v_or3_b32 v84, v133, v84, v134
	s_delay_alu instid0(VALU_DEP_2) | instskip(NEXT) | instid1(VALU_DEP_2)
	v_cmp_ne_u32_e32 vcc_lo, 0, v83
	v_cndmask_b32_e32 v83, 0, v84, vcc_lo
.LBB4_419:                              ;   in Loop: Header=BB4_370 Depth=2
	s_or_b32 exec_lo, exec_lo, s18
.LBB4_420:                              ;   in Loop: Header=BB4_370 Depth=2
	s_delay_alu instid0(SALU_CYCLE_1) | instskip(SKIP_3) | instid1(VALU_DEP_1)
	s_or_b32 exec_lo, exec_lo, s8
	v_lshrrev_b32_e32 v132, 16, v18
	s_mov_b32 s7, 0
	s_mov_b32 s18, exec_lo
                                        ; implicit-def: $sgpr8
	v_and_b32_e32 v133, 0xff, v132
	s_delay_alu instid0(VALU_DEP_1)
	v_cmpx_lt_i16_e64 0x7f, v133
	s_xor_b32 s18, exec_lo, s18
	s_cbranch_execnz .LBB4_550
; %bb.421:                              ;   in Loop: Header=BB4_370 Depth=2
	s_or_saveexec_b32 s18, s18
	v_mov_b32_e32 v84, s8
	s_xor_b32 exec_lo, exec_lo, s18
	s_cbranch_execnz .LBB4_553
.LBB4_422:                              ;   in Loop: Header=BB4_370 Depth=2
	s_or_b32 exec_lo, exec_lo, s18
	s_and_saveexec_b32 s8, s7
	s_cbranch_execz .LBB4_424
.LBB4_423:                              ;   in Loop: Header=BB4_370 Depth=2
	v_bfe_u32 v84, v18, 16, 3
	s_delay_alu instid0(VALU_DEP_1) | instskip(NEXT) | instid1(VALU_DEP_1)
	v_clz_i32_u32_e32 v133, v84
	v_min_u32_e32 v133, 32, v133
	s_delay_alu instid0(VALU_DEP_1) | instskip(SKIP_1) | instid1(VALU_DEP_2)
	v_subrev_nc_u32_e32 v134, 28, v133
	v_sub_nc_u32_e32 v133, 29, v133
	v_lshlrev_b32_e32 v132, v134, v132
	v_bfe_u32 v134, v18, 19, 4
	s_delay_alu instid0(VALU_DEP_1) | instskip(NEXT) | instid1(VALU_DEP_3)
	v_cmp_eq_u32_e32 vcc_lo, 0, v134
	v_dual_cndmask_b32 v133, v134, v133 :: v_dual_and_b32 v132, 7, v132
	s_delay_alu instid0(VALU_DEP_1) | instskip(NEXT) | instid1(VALU_DEP_2)
	v_dual_cndmask_b32 v84, v84, v132 :: v_dual_lshlrev_b32 v135, 8, v18
	v_lshl_add_u32 v133, v133, 23, 0x3b800000
	s_delay_alu instid0(VALU_DEP_2) | instskip(NEXT) | instid1(VALU_DEP_3)
	v_and_b32_e32 v132, 0x80000000, v135
	v_lshlrev_b32_e32 v84, 20, v84
	s_delay_alu instid0(VALU_DEP_1)
	v_or3_b32 v84, v132, v133, v84
.LBB4_424:                              ;   in Loop: Header=BB4_370 Depth=2
	s_or_b32 exec_lo, exec_lo, s8
	v_lshrrev_b32_e32 v132, 16, v99
	s_mov_b32 s7, 0
	s_mov_b32 s18, exec_lo
                                        ; implicit-def: $sgpr8
	s_delay_alu instid0(VALU_DEP_1) | instskip(NEXT) | instid1(VALU_DEP_1)
	v_and_b32_e32 v134, 0xff, v132
	v_cmpx_lt_i16_e64 0x7f, v134
	s_xor_b32 s18, exec_lo, s18
	s_cbranch_execnz .LBB4_554
; %bb.425:                              ;   in Loop: Header=BB4_370 Depth=2
	s_or_saveexec_b32 s18, s18
	v_mov_b32_e32 v133, s8
	s_xor_b32 exec_lo, exec_lo, s18
	s_cbranch_execnz .LBB4_557
.LBB4_426:                              ;   in Loop: Header=BB4_370 Depth=2
	s_or_b32 exec_lo, exec_lo, s18
	s_and_saveexec_b32 s8, s7
	s_cbranch_execz .LBB4_428
.LBB4_427:                              ;   in Loop: Header=BB4_370 Depth=2
	v_bfe_u32 v133, v99, 16, 3
	v_lshlrev_b32_e32 v144, 8, v99
	s_delay_alu instid0(VALU_DEP_2) | instskip(NEXT) | instid1(VALU_DEP_1)
	v_clz_i32_u32_e32 v134, v133
	v_min_u32_e32 v134, 32, v134
	s_delay_alu instid0(VALU_DEP_1) | instskip(SKIP_1) | instid1(VALU_DEP_2)
	v_subrev_nc_u32_e32 v135, 28, v134
	v_sub_nc_u32_e32 v134, 29, v134
	v_lshlrev_b32_e32 v132, v135, v132
	v_bfe_u32 v135, v99, 19, 4
	s_delay_alu instid0(VALU_DEP_2) | instskip(NEXT) | instid1(VALU_DEP_2)
	v_and_b32_e32 v132, 7, v132
	v_cmp_eq_u32_e32 vcc_lo, 0, v135
	v_cndmask_b32_e32 v134, v135, v134, vcc_lo
	s_delay_alu instid0(VALU_DEP_3) | instskip(SKIP_1) | instid1(VALU_DEP_3)
	v_cndmask_b32_e32 v132, v133, v132, vcc_lo
	v_and_b32_e32 v133, 0x80000000, v144
	v_lshl_add_u32 v134, v134, 23, 0x3b800000
	s_delay_alu instid0(VALU_DEP_3) | instskip(NEXT) | instid1(VALU_DEP_1)
	v_lshlrev_b32_e32 v132, 20, v132
	v_or3_b32 v133, v133, v134, v132
.LBB4_428:                              ;   in Loop: Header=BB4_370 Depth=2
	s_or_b32 exec_lo, exec_lo, s8
	s_delay_alu instid0(VALU_DEP_1) | instskip(NEXT) | instid1(VALU_DEP_1)
	v_add_f32_e32 v132, v84, v133
	v_and_b32_e32 v84, 0x7f800000, v132
	s_delay_alu instid0(VALU_DEP_1)
	v_cmp_ne_u32_e32 vcc_lo, 0x7f800000, v84
	v_mov_b32_e32 v84, 0x80
	s_and_saveexec_b32 s8, vcc_lo
	s_cbranch_execz .LBB4_436
; %bb.429:                              ;   in Loop: Header=BB4_370 Depth=2
	v_mov_b32_e32 v84, 0
	s_mov_b32 s18, exec_lo
	v_cmpx_ne_u32_e32 0, v132
	s_cbranch_execz .LBB4_435
; %bb.430:                              ;   in Loop: Header=BB4_370 Depth=2
	v_bfe_u32 v84, v132, 23, 8
	s_delay_alu instid0(VALU_DEP_1) | instskip(SKIP_1) | instid1(VALU_DEP_2)
	v_sub_nc_u32_e32 v134, 0x78, v84
	v_cmp_gt_u32_e32 vcc_lo, 0x79, v84
	v_dual_cndmask_b32 v134, 0, v134 :: v_dual_and_b32 v133, 0x7fffff, v132
	s_delay_alu instid0(VALU_DEP_1) | instskip(SKIP_2) | instid1(VALU_DEP_4)
	v_or_b32_e32 v135, 0x800000, v133
	v_cmp_eq_u32_e32 vcc_lo, 0, v84
	v_add_nc_u32_e32 v84, 0xffffff89, v84
	v_cndmask_b32_e64 v134, v134, 0x77, vcc_lo
	s_delay_alu instid0(VALU_DEP_4) | instskip(NEXT) | instid1(VALU_DEP_3)
	v_cndmask_b32_e32 v133, v135, v133, vcc_lo
	v_cndmask_b32_e64 v84, v84, 0xffffff8a, vcc_lo
	s_delay_alu instid0(VALU_DEP_3) | instskip(NEXT) | instid1(VALU_DEP_3)
	v_lshl_add_u32 v135, 0x100000, v134, -1
	v_lshrrev_b32_e32 v144, v134, v133
	v_lshlrev_b32_e64 v146, v134, 0x80000
	s_delay_alu instid0(VALU_DEP_4) | instskip(NEXT) | instid1(VALU_DEP_4)
	v_add_nc_u32_e32 v134, v134, v84
	v_and_b32_e32 v133, v135, v133
	s_delay_alu instid0(VALU_DEP_4) | instskip(NEXT) | instid1(VALU_DEP_2)
	v_bfe_u32 v145, v144, 20, 1
	v_cmp_eq_u32_e64 s7, v133, v146
	s_delay_alu instid0(VALU_DEP_2) | instskip(NEXT) | instid1(VALU_DEP_1)
	v_add_nc_u32_e32 v135, -1, v145
	v_cndmask_b32_e64 v133, 0, v135, s7
	v_lshrrev_b32_e32 v135, 23, v144
	s_mov_b32 s7, exec_lo
	s_delay_alu instid0(VALU_DEP_2) | instskip(NEXT) | instid1(VALU_DEP_2)
	v_add_nc_u32_e32 v133, v133, v144
	v_xor_b32_e32 v135, 1, v135
	s_delay_alu instid0(VALU_DEP_2) | instskip(NEXT) | instid1(VALU_DEP_1)
	v_and_b32_e32 v84, 0xfffff, v133
	v_add_nc_u32_e32 v133, v84, v144
                                        ; implicit-def: $vgpr84
	s_delay_alu instid0(VALU_DEP_3)
	v_cmpx_ne_u32_e64 v134, v135
	s_xor_b32 s7, exec_lo, s7
; %bb.431:                              ;   in Loop: Header=BB4_370 Depth=2
	s_delay_alu instid0(VALU_DEP_2) | instskip(SKIP_2) | instid1(VALU_DEP_2)
	v_cmp_lt_u32_e32 vcc_lo, 0xffffff, v133
	v_sub_nc_u32_e32 v84, v134, v135
	v_cndmask_b32_e64 v134, 0, 1, vcc_lo
	v_add_co_ci_u32_e32 v84, vcc_lo, 0, v84, vcc_lo
	s_delay_alu instid0(VALU_DEP_2)
	v_lshrrev_b32_e32 v133, v134, v133
; %bb.432:                              ;   in Loop: Header=BB4_370 Depth=2
	s_and_not1_saveexec_b32 s7, s7
; %bb.433:                              ;   in Loop: Header=BB4_370 Depth=2
	s_delay_alu instid0(VALU_DEP_1)
	v_bfe_u32 v84, v133, 23, 1
; %bb.434:                              ;   in Loop: Header=BB4_370 Depth=2
	s_or_b32 exec_lo, exec_lo, s7
	v_lshrrev_b32_e32 v133, 20, v133
	s_delay_alu instid0(VALU_DEP_2) | instskip(SKIP_2) | instid1(VALU_DEP_2)
	v_cmp_gt_i32_e32 vcc_lo, 16, v84
	v_lshrrev_b32_e32 v132, 24, v132
	v_min_i32_e32 v134, 15, v84
	v_dual_cndmask_b32 v133, 7, v133 :: v_dual_and_b32 v132, 0x80, v132
	s_delay_alu instid0(VALU_DEP_2) | instskip(NEXT) | instid1(VALU_DEP_2)
	v_lshlrev_b32_e32 v134, 3, v134
	v_or_b32_e32 v84, v84, v133
	s_delay_alu instid0(VALU_DEP_1) | instskip(SKIP_1) | instid1(VALU_DEP_1)
	v_cmp_ne_u32_e32 vcc_lo, 0, v84
	v_and_b32_e32 v135, 7, v133
	v_or3_b32 v132, v134, v132, v135
	s_delay_alu instid0(VALU_DEP_1)
	v_cndmask_b32_e32 v84, 0, v132, vcc_lo
.LBB4_435:                              ;   in Loop: Header=BB4_370 Depth=2
	s_or_b32 exec_lo, exec_lo, s18
.LBB4_436:                              ;   in Loop: Header=BB4_370 Depth=2
	s_delay_alu instid0(SALU_CYCLE_1) | instskip(SKIP_3) | instid1(VALU_DEP_1)
	s_or_b32 exec_lo, exec_lo, s8
	v_lshrrev_b32_e32 v133, 24, v18
	s_mov_b32 s7, 0
	s_mov_b32 s18, exec_lo
                                        ; implicit-def: $sgpr8
	v_cmpx_lt_i16_e64 0x7f, v133
	s_xor_b32 s18, exec_lo, s18
	s_cbranch_execnz .LBB4_558
; %bb.437:                              ;   in Loop: Header=BB4_370 Depth=2
	s_or_saveexec_b32 s18, s18
	v_mov_b32_e32 v132, s8
	s_xor_b32 exec_lo, exec_lo, s18
	s_cbranch_execnz .LBB4_561
.LBB4_438:                              ;   in Loop: Header=BB4_370 Depth=2
	s_or_b32 exec_lo, exec_lo, s18
	s_and_saveexec_b32 s8, s7
	s_cbranch_execz .LBB4_440
.LBB4_439:                              ;   in Loop: Header=BB4_370 Depth=2
	v_bfe_u32 v132, v18, 24, 3
	s_delay_alu instid0(VALU_DEP_1) | instskip(NEXT) | instid1(VALU_DEP_1)
	v_clz_i32_u32_e32 v134, v132
	v_min_u32_e32 v134, 32, v134
	s_delay_alu instid0(VALU_DEP_1) | instskip(SKIP_1) | instid1(VALU_DEP_2)
	v_subrev_nc_u32_e32 v135, 28, v134
	v_sub_nc_u32_e32 v134, 29, v134
	v_lshlrev_b32_e32 v133, v135, v133
	v_bfe_u32 v135, v18, 27, 4
	v_and_b32_e32 v18, 0x80000000, v18
	s_delay_alu instid0(VALU_DEP_2) | instskip(NEXT) | instid1(VALU_DEP_4)
	v_cmp_eq_u32_e32 vcc_lo, 0, v135
	v_dual_cndmask_b32 v134, v135, v134 :: v_dual_and_b32 v133, 7, v133
	s_delay_alu instid0(VALU_DEP_1) | instskip(NEXT) | instid1(VALU_DEP_2)
	v_cndmask_b32_e32 v132, v132, v133, vcc_lo
	v_lshl_add_u32 v133, v134, 23, 0x3b800000
	s_delay_alu instid0(VALU_DEP_2) | instskip(NEXT) | instid1(VALU_DEP_1)
	v_lshlrev_b32_e32 v132, 20, v132
	v_or3_b32 v132, v18, v133, v132
.LBB4_440:                              ;   in Loop: Header=BB4_370 Depth=2
	s_or_b32 exec_lo, exec_lo, s8
	v_lshrrev_b32_e32 v18, 24, v99
	s_mov_b32 s7, 0
	s_mov_b32 s18, exec_lo
                                        ; implicit-def: $sgpr8
	s_delay_alu instid0(VALU_DEP_1)
	v_cmpx_lt_i16_e32 0x7f, v18
	s_xor_b32 s18, exec_lo, s18
	s_cbranch_execnz .LBB4_562
; %bb.441:                              ;   in Loop: Header=BB4_370 Depth=2
	s_or_saveexec_b32 s18, s18
	v_mov_b32_e32 v133, s8
	s_xor_b32 exec_lo, exec_lo, s18
	s_cbranch_execnz .LBB4_565
.LBB4_442:                              ;   in Loop: Header=BB4_370 Depth=2
	s_or_b32 exec_lo, exec_lo, s18
	s_and_saveexec_b32 s8, s7
	s_cbranch_execz .LBB4_444
.LBB4_443:                              ;   in Loop: Header=BB4_370 Depth=2
	v_bfe_u32 v133, v99, 24, 3
	s_delay_alu instid0(VALU_DEP_1) | instskip(NEXT) | instid1(VALU_DEP_1)
	v_clz_i32_u32_e32 v134, v133
	v_min_u32_e32 v134, 32, v134
	s_delay_alu instid0(VALU_DEP_1) | instskip(SKIP_1) | instid1(VALU_DEP_2)
	v_subrev_nc_u32_e32 v135, 28, v134
	v_sub_nc_u32_e32 v134, 29, v134
	v_lshlrev_b32_e32 v18, v135, v18
	v_bfe_u32 v135, v99, 27, 4
	v_and_b32_e32 v99, 0x80000000, v99
	s_delay_alu instid0(VALU_DEP_3) | instskip(NEXT) | instid1(VALU_DEP_3)
	v_and_b32_e32 v18, 7, v18
	v_cmp_eq_u32_e32 vcc_lo, 0, v135
	v_cndmask_b32_e32 v134, v135, v134, vcc_lo
	s_delay_alu instid0(VALU_DEP_3) | instskip(NEXT) | instid1(VALU_DEP_2)
	v_cndmask_b32_e32 v18, v133, v18, vcc_lo
	v_lshl_add_u32 v133, v134, 23, 0x3b800000
	s_delay_alu instid0(VALU_DEP_2) | instskip(NEXT) | instid1(VALU_DEP_1)
	v_lshlrev_b32_e32 v18, 20, v18
	v_or3_b32 v133, v99, v133, v18
.LBB4_444:                              ;   in Loop: Header=BB4_370 Depth=2
	s_or_b32 exec_lo, exec_lo, s8
	s_delay_alu instid0(VALU_DEP_1) | instskip(NEXT) | instid1(VALU_DEP_1)
	v_add_f32_e32 v99, v132, v133
	v_and_b32_e32 v18, 0x7f800000, v99
	s_delay_alu instid0(VALU_DEP_1)
	v_cmp_ne_u32_e32 vcc_lo, 0x7f800000, v18
	v_mov_b32_e32 v18, 0x80
	s_and_saveexec_b32 s8, vcc_lo
	s_cbranch_execz .LBB4_452
; %bb.445:                              ;   in Loop: Header=BB4_370 Depth=2
	v_mov_b32_e32 v18, 0
	s_mov_b32 s18, exec_lo
	v_cmpx_ne_u32_e32 0, v99
	s_cbranch_execz .LBB4_451
; %bb.446:                              ;   in Loop: Header=BB4_370 Depth=2
	v_bfe_u32 v18, v99, 23, 8
	s_delay_alu instid0(VALU_DEP_1) | instskip(SKIP_1) | instid1(VALU_DEP_2)
	v_sub_nc_u32_e32 v133, 0x78, v18
	v_cmp_gt_u32_e32 vcc_lo, 0x79, v18
	v_dual_cndmask_b32 v133, 0, v133 :: v_dual_and_b32 v132, 0x7fffff, v99
	s_delay_alu instid0(VALU_DEP_1) | instskip(SKIP_2) | instid1(VALU_DEP_4)
	v_or_b32_e32 v134, 0x800000, v132
	v_cmp_eq_u32_e32 vcc_lo, 0, v18
	v_add_nc_u32_e32 v18, 0xffffff89, v18
	v_cndmask_b32_e64 v133, v133, 0x77, vcc_lo
	s_delay_alu instid0(VALU_DEP_2) | instskip(SKIP_1) | instid1(VALU_DEP_3)
	v_cndmask_b32_e64 v18, v18, 0xffffff8a, vcc_lo
	v_cndmask_b32_e32 v132, v134, v132, vcc_lo
	v_lshl_add_u32 v134, 0x100000, v133, -1
	v_lshlrev_b32_e64 v145, v133, 0x80000
	s_delay_alu instid0(VALU_DEP_3) | instskip(SKIP_1) | instid1(VALU_DEP_4)
	v_lshrrev_b32_e32 v135, v133, v132
	v_add_nc_u32_e32 v133, v133, v18
	v_and_b32_e32 v132, v134, v132
	s_delay_alu instid0(VALU_DEP_3) | instskip(NEXT) | instid1(VALU_DEP_2)
	v_bfe_u32 v144, v135, 20, 1
	v_cmp_eq_u32_e64 s7, v132, v145
	s_delay_alu instid0(VALU_DEP_2) | instskip(NEXT) | instid1(VALU_DEP_1)
	v_add_nc_u32_e32 v134, -1, v144
	v_cndmask_b32_e64 v132, 0, v134, s7
	v_lshrrev_b32_e32 v134, 23, v135
	s_mov_b32 s7, exec_lo
	s_delay_alu instid0(VALU_DEP_2) | instskip(NEXT) | instid1(VALU_DEP_2)
	v_add_nc_u32_e32 v132, v132, v135
	v_xor_b32_e32 v134, 1, v134
	s_delay_alu instid0(VALU_DEP_2) | instskip(NEXT) | instid1(VALU_DEP_1)
	v_and_b32_e32 v18, 0xfffff, v132
	v_add_nc_u32_e32 v132, v18, v135
                                        ; implicit-def: $vgpr18
	s_delay_alu instid0(VALU_DEP_3)
	v_cmpx_ne_u32_e64 v133, v134
	s_xor_b32 s7, exec_lo, s7
; %bb.447:                              ;   in Loop: Header=BB4_370 Depth=2
	s_delay_alu instid0(VALU_DEP_2) | instskip(SKIP_2) | instid1(VALU_DEP_2)
	v_cmp_lt_u32_e32 vcc_lo, 0xffffff, v132
	v_sub_nc_u32_e32 v18, v133, v134
	v_cndmask_b32_e64 v133, 0, 1, vcc_lo
	v_add_co_ci_u32_e32 v18, vcc_lo, 0, v18, vcc_lo
	s_delay_alu instid0(VALU_DEP_2)
	v_lshrrev_b32_e32 v132, v133, v132
; %bb.448:                              ;   in Loop: Header=BB4_370 Depth=2
	s_and_not1_saveexec_b32 s7, s7
; %bb.449:                              ;   in Loop: Header=BB4_370 Depth=2
	s_delay_alu instid0(VALU_DEP_1)
	v_bfe_u32 v18, v132, 23, 1
; %bb.450:                              ;   in Loop: Header=BB4_370 Depth=2
	s_or_b32 exec_lo, exec_lo, s7
	v_lshrrev_b32_e32 v132, 20, v132
	s_delay_alu instid0(VALU_DEP_2) | instskip(SKIP_2) | instid1(VALU_DEP_2)
	v_cmp_gt_i32_e32 vcc_lo, 16, v18
	v_lshrrev_b32_e32 v99, 24, v99
	v_min_i32_e32 v133, 15, v18
	v_dual_cndmask_b32 v132, 7, v132 :: v_dual_and_b32 v99, 0x80, v99
	s_delay_alu instid0(VALU_DEP_1) | instskip(SKIP_1) | instid1(VALU_DEP_2)
	v_or_b32_e32 v18, v18, v132
	v_and_b32_e32 v134, 7, v132
	v_cmp_ne_u32_e32 vcc_lo, 0, v18
	v_lshlrev_b32_e32 v133, 3, v133
	s_delay_alu instid0(VALU_DEP_1) | instskip(NEXT) | instid1(VALU_DEP_1)
	v_or3_b32 v99, v133, v99, v134
	v_cndmask_b32_e32 v18, 0, v99, vcc_lo
.LBB4_451:                              ;   in Loop: Header=BB4_370 Depth=2
	s_or_b32 exec_lo, exec_lo, s18
.LBB4_452:                              ;   in Loop: Header=BB4_370 Depth=2
	s_delay_alu instid0(SALU_CYCLE_1) | instskip(SKIP_3) | instid1(VALU_DEP_1)
	s_or_b32 exec_lo, exec_lo, s8
	v_and_b32_e32 v99, 0xff, v20
	s_mov_b32 s7, 0
	s_mov_b32 s18, exec_lo
                                        ; implicit-def: $sgpr8
	v_cmpx_lt_i16_e32 0x7f, v99
	s_xor_b32 s18, exec_lo, s18
	s_cbranch_execnz .LBB4_566
; %bb.453:                              ;   in Loop: Header=BB4_370 Depth=2
	s_or_saveexec_b32 s18, s18
	v_mov_b32_e32 v132, s8
	s_xor_b32 exec_lo, exec_lo, s18
	s_cbranch_execnz .LBB4_569
.LBB4_454:                              ;   in Loop: Header=BB4_370 Depth=2
	s_or_b32 exec_lo, exec_lo, s18
	s_and_saveexec_b32 s8, s7
	s_cbranch_execz .LBB4_456
.LBB4_455:                              ;   in Loop: Header=BB4_370 Depth=2
	v_and_b32_e32 v99, 7, v20
	v_bfe_u32 v134, v20, 3, 4
	v_lshlrev_b32_e32 v135, 24, v20
	s_delay_alu instid0(VALU_DEP_3) | instskip(NEXT) | instid1(VALU_DEP_3)
	v_clz_i32_u32_e32 v132, v99
	v_cmp_eq_u32_e32 vcc_lo, 0, v134
	s_delay_alu instid0(VALU_DEP_2) | instskip(NEXT) | instid1(VALU_DEP_1)
	v_min_u32_e32 v132, 32, v132
	v_subrev_nc_u32_e32 v133, 28, v132
	v_sub_nc_u32_e32 v132, 29, v132
	s_delay_alu instid0(VALU_DEP_2) | instskip(NEXT) | instid1(VALU_DEP_1)
	v_lshlrev_b32_e32 v133, v133, v20
	v_dual_cndmask_b32 v132, v134, v132 :: v_dual_and_b32 v133, 7, v133
	s_delay_alu instid0(VALU_DEP_1) | instskip(NEXT) | instid1(VALU_DEP_2)
	v_lshl_add_u32 v132, v132, 23, 0x3b800000
	v_cndmask_b32_e32 v99, v99, v133, vcc_lo
	v_and_b32_e32 v133, 0x80000000, v135
	s_delay_alu instid0(VALU_DEP_2) | instskip(NEXT) | instid1(VALU_DEP_1)
	v_lshlrev_b32_e32 v99, 20, v99
	v_or3_b32 v132, v133, v132, v99
.LBB4_456:                              ;   in Loop: Header=BB4_370 Depth=2
	s_or_b32 exec_lo, exec_lo, s8
	v_alignbit_b32 v19, v97, v98, v19
	v_mov_b32_e32 v99, v20
	s_mov_b32 s7, 0
	s_mov_b32 s18, exec_lo
                                        ; implicit-def: $sgpr8
	s_delay_alu instid0(VALU_DEP_2) | instskip(NEXT) | instid1(VALU_DEP_1)
	v_and_b32_e32 v98, 0xff, v19
	v_cmpx_lt_i16_e32 0x7f, v98
	s_xor_b32 s18, exec_lo, s18
	s_cbranch_execnz .LBB4_570
; %bb.457:                              ;   in Loop: Header=BB4_370 Depth=2
	s_or_saveexec_b32 s18, s18
	v_mov_b32_e32 v97, s8
	s_xor_b32 exec_lo, exec_lo, s18
	s_cbranch_execnz .LBB4_573
.LBB4_458:                              ;   in Loop: Header=BB4_370 Depth=2
	s_or_b32 exec_lo, exec_lo, s18
	s_and_saveexec_b32 s8, s7
	s_cbranch_execz .LBB4_460
.LBB4_459:                              ;   in Loop: Header=BB4_370 Depth=2
	v_bfe_u32 v134, v19, 3, 4
	v_lshlrev_b32_e32 v135, 24, v19
	s_delay_alu instid0(VALU_DEP_2) | instskip(SKIP_1) | instid1(VALU_DEP_1)
	v_cmp_eq_u32_e32 vcc_lo, 0, v134
	v_and_b32_e32 v97, 7, v19
	v_clz_i32_u32_e32 v98, v97
	s_delay_alu instid0(VALU_DEP_1) | instskip(NEXT) | instid1(VALU_DEP_1)
	v_min_u32_e32 v98, 32, v98
	v_subrev_nc_u32_e32 v133, 28, v98
	v_sub_nc_u32_e32 v98, 29, v98
	s_delay_alu instid0(VALU_DEP_1) | instskip(NEXT) | instid1(VALU_DEP_1)
	v_dual_cndmask_b32 v98, v134, v98 :: v_dual_lshlrev_b32 v133, v133, v19
	v_and_b32_e32 v133, 7, v133
	s_delay_alu instid0(VALU_DEP_2) | instskip(NEXT) | instid1(VALU_DEP_2)
	v_lshl_add_u32 v98, v98, 23, 0x3b800000
	v_cndmask_b32_e32 v97, v97, v133, vcc_lo
	v_and_b32_e32 v133, 0x80000000, v135
	s_delay_alu instid0(VALU_DEP_2) | instskip(NEXT) | instid1(VALU_DEP_1)
	v_lshlrev_b32_e32 v97, 20, v97
	v_or3_b32 v97, v133, v98, v97
.LBB4_460:                              ;   in Loop: Header=BB4_370 Depth=2
	s_or_b32 exec_lo, exec_lo, s8
	s_delay_alu instid0(VALU_DEP_1) | instskip(NEXT) | instid1(VALU_DEP_1)
	v_add_f32_e32 v98, v132, v97
	v_and_b32_e32 v97, 0x7f800000, v98
	s_delay_alu instid0(VALU_DEP_1)
	v_cmp_ne_u32_e32 vcc_lo, 0x7f800000, v97
	v_mov_b32_e32 v97, 0x80
	s_and_saveexec_b32 s8, vcc_lo
	s_cbranch_execz .LBB4_468
; %bb.461:                              ;   in Loop: Header=BB4_370 Depth=2
	v_mov_b32_e32 v97, 0
	s_mov_b32 s18, exec_lo
	v_cmpx_ne_u32_e32 0, v98
	s_cbranch_execz .LBB4_467
; %bb.462:                              ;   in Loop: Header=BB4_370 Depth=2
	v_bfe_u32 v97, v98, 23, 8
	s_delay_alu instid0(VALU_DEP_1) | instskip(SKIP_1) | instid1(VALU_DEP_2)
	v_sub_nc_u32_e32 v133, 0x78, v97
	v_cmp_gt_u32_e32 vcc_lo, 0x79, v97
	v_dual_cndmask_b32 v133, 0, v133 :: v_dual_and_b32 v132, 0x7fffff, v98
	s_delay_alu instid0(VALU_DEP_1) | instskip(SKIP_2) | instid1(VALU_DEP_4)
	v_or_b32_e32 v134, 0x800000, v132
	v_cmp_eq_u32_e32 vcc_lo, 0, v97
	v_add_nc_u32_e32 v97, 0xffffff89, v97
	v_cndmask_b32_e64 v133, v133, 0x77, vcc_lo
	s_delay_alu instid0(VALU_DEP_4) | instskip(NEXT) | instid1(VALU_DEP_3)
	v_cndmask_b32_e32 v132, v134, v132, vcc_lo
	v_cndmask_b32_e64 v97, v97, 0xffffff8a, vcc_lo
	s_delay_alu instid0(VALU_DEP_3) | instskip(NEXT) | instid1(VALU_DEP_3)
	v_lshl_add_u32 v134, 0x100000, v133, -1
	v_lshrrev_b32_e32 v135, v133, v132
	v_lshlrev_b32_e64 v145, v133, 0x80000
	s_delay_alu instid0(VALU_DEP_4) | instskip(NEXT) | instid1(VALU_DEP_4)
	v_add_nc_u32_e32 v133, v133, v97
	v_and_b32_e32 v132, v134, v132
	s_delay_alu instid0(VALU_DEP_4) | instskip(NEXT) | instid1(VALU_DEP_2)
	v_bfe_u32 v144, v135, 20, 1
	v_cmp_eq_u32_e64 s7, v132, v145
	s_delay_alu instid0(VALU_DEP_2) | instskip(NEXT) | instid1(VALU_DEP_1)
	v_add_nc_u32_e32 v134, -1, v144
	v_cndmask_b32_e64 v132, 0, v134, s7
	v_lshrrev_b32_e32 v134, 23, v135
	s_mov_b32 s7, exec_lo
	s_delay_alu instid0(VALU_DEP_2) | instskip(NEXT) | instid1(VALU_DEP_2)
	v_add_nc_u32_e32 v132, v132, v135
	v_xor_b32_e32 v134, 1, v134
	s_delay_alu instid0(VALU_DEP_2) | instskip(NEXT) | instid1(VALU_DEP_1)
	v_and_b32_e32 v97, 0xfffff, v132
	v_add_nc_u32_e32 v132, v97, v135
                                        ; implicit-def: $vgpr97
	s_delay_alu instid0(VALU_DEP_3)
	v_cmpx_ne_u32_e64 v133, v134
	s_xor_b32 s7, exec_lo, s7
; %bb.463:                              ;   in Loop: Header=BB4_370 Depth=2
	s_delay_alu instid0(VALU_DEP_2) | instskip(SKIP_2) | instid1(VALU_DEP_2)
	v_cmp_lt_u32_e32 vcc_lo, 0xffffff, v132
	v_sub_nc_u32_e32 v97, v133, v134
	v_cndmask_b32_e64 v133, 0, 1, vcc_lo
	v_add_co_ci_u32_e32 v97, vcc_lo, 0, v97, vcc_lo
	s_delay_alu instid0(VALU_DEP_2)
	v_lshrrev_b32_e32 v132, v133, v132
; %bb.464:                              ;   in Loop: Header=BB4_370 Depth=2
	s_and_not1_saveexec_b32 s7, s7
; %bb.465:                              ;   in Loop: Header=BB4_370 Depth=2
	s_delay_alu instid0(VALU_DEP_1)
	v_bfe_u32 v97, v132, 23, 1
; %bb.466:                              ;   in Loop: Header=BB4_370 Depth=2
	s_or_b32 exec_lo, exec_lo, s7
	v_lshrrev_b32_e32 v132, 20, v132
	s_delay_alu instid0(VALU_DEP_2) | instskip(SKIP_2) | instid1(VALU_DEP_2)
	v_cmp_gt_i32_e32 vcc_lo, 16, v97
	v_min_i32_e32 v133, 15, v97
	v_lshrrev_b32_e32 v98, 24, v98
	v_dual_cndmask_b32 v132, 7, v132 :: v_dual_lshlrev_b32 v133, 3, v133
	s_delay_alu instid0(VALU_DEP_2) | instskip(NEXT) | instid1(VALU_DEP_2)
	v_and_b32_e32 v98, 0x80, v98
	v_or_b32_e32 v97, v97, v132
	s_delay_alu instid0(VALU_DEP_1) | instskip(SKIP_1) | instid1(VALU_DEP_1)
	v_cmp_ne_u32_e32 vcc_lo, 0, v97
	v_and_b32_e32 v134, 7, v132
	v_or3_b32 v98, v133, v98, v134
	s_delay_alu instid0(VALU_DEP_1)
	v_cndmask_b32_e32 v97, 0, v98, vcc_lo
.LBB4_467:                              ;   in Loop: Header=BB4_370 Depth=2
	s_or_b32 exec_lo, exec_lo, s18
.LBB4_468:                              ;   in Loop: Header=BB4_370 Depth=2
	s_delay_alu instid0(SALU_CYCLE_1) | instskip(SKIP_3) | instid1(VALU_DEP_1)
	s_or_b32 exec_lo, exec_lo, s8
	v_lshrrev_b16 v99, 8, v99
	s_mov_b32 s7, 0
	s_mov_b32 s18, exec_lo
                                        ; implicit-def: $sgpr8
	v_cmpx_lt_i16_e32 0x7f, v99
	s_xor_b32 s18, exec_lo, s18
	s_cbranch_execnz .LBB4_574
; %bb.469:                              ;   in Loop: Header=BB4_370 Depth=2
	s_or_saveexec_b32 s18, s18
	v_mov_b32_e32 v98, s8
	s_xor_b32 exec_lo, exec_lo, s18
	s_cbranch_execnz .LBB4_577
.LBB4_470:                              ;   in Loop: Header=BB4_370 Depth=2
	s_or_b32 exec_lo, exec_lo, s18
	s_and_saveexec_b32 s8, s7
	s_cbranch_execz .LBB4_472
.LBB4_471:                              ;   in Loop: Header=BB4_370 Depth=2
	v_and_b32_e32 v98, 0xffff, v99
	s_delay_alu instid0(VALU_DEP_1) | instskip(NEXT) | instid1(VALU_DEP_1)
	v_and_b32_e32 v132, 7, v98
	v_clz_i32_u32_e32 v133, v132
	s_delay_alu instid0(VALU_DEP_1) | instskip(NEXT) | instid1(VALU_DEP_1)
	v_min_u32_e32 v133, 32, v133
	v_subrev_nc_u32_e32 v134, 28, v133
	v_sub_nc_u32_e32 v133, 29, v133
	s_delay_alu instid0(VALU_DEP_2) | instskip(SKIP_1) | instid1(VALU_DEP_2)
	v_lshlrev_b32_e32 v134, v134, v98
	v_bfe_u32 v98, v98, 3, 4
	v_and_b32_e32 v134, 7, v134
	s_delay_alu instid0(VALU_DEP_2) | instskip(SKIP_1) | instid1(VALU_DEP_1)
	v_cmp_eq_u32_e32 vcc_lo, 0, v98
	v_dual_cndmask_b32 v98, v98, v133 :: v_dual_lshlrev_b32 v99, 24, v99
	v_dual_cndmask_b32 v132, v132, v134 :: v_dual_and_b32 v99, 0x80000000, v99
	s_delay_alu instid0(VALU_DEP_2) | instskip(NEXT) | instid1(VALU_DEP_2)
	v_lshl_add_u32 v98, v98, 23, 0x3b800000
	v_lshlrev_b32_e32 v132, 20, v132
	s_delay_alu instid0(VALU_DEP_1)
	v_or3_b32 v98, v99, v98, v132
.LBB4_472:                              ;   in Loop: Header=BB4_370 Depth=2
	s_or_b32 exec_lo, exec_lo, s8
	v_lshrrev_b16 v99, 8, v19
	s_mov_b32 s7, 0
	s_mov_b32 s18, exec_lo
                                        ; implicit-def: $sgpr8
	s_delay_alu instid0(VALU_DEP_1)
	v_cmpx_lt_i16_e32 0x7f, v99
	s_xor_b32 s18, exec_lo, s18
	s_cbranch_execnz .LBB4_578
; %bb.473:                              ;   in Loop: Header=BB4_370 Depth=2
	s_or_saveexec_b32 s18, s18
	v_mov_b32_e32 v132, s8
	s_xor_b32 exec_lo, exec_lo, s18
	s_cbranch_execnz .LBB4_581
.LBB4_474:                              ;   in Loop: Header=BB4_370 Depth=2
	s_or_b32 exec_lo, exec_lo, s18
	s_and_saveexec_b32 s8, s7
	s_cbranch_execz .LBB4_476
.LBB4_475:                              ;   in Loop: Header=BB4_370 Depth=2
	v_and_b32_e32 v132, 0xffff, v99
	v_lshlrev_b32_e32 v99, 24, v99
	s_delay_alu instid0(VALU_DEP_2) | instskip(NEXT) | instid1(VALU_DEP_2)
	v_and_b32_e32 v133, 7, v132
	v_and_b32_e32 v99, 0x80000000, v99
	s_delay_alu instid0(VALU_DEP_2) | instskip(NEXT) | instid1(VALU_DEP_1)
	v_clz_i32_u32_e32 v134, v133
	v_min_u32_e32 v134, 32, v134
	s_delay_alu instid0(VALU_DEP_1) | instskip(SKIP_1) | instid1(VALU_DEP_2)
	v_subrev_nc_u32_e32 v135, 28, v134
	v_sub_nc_u32_e32 v134, 29, v134
	v_lshlrev_b32_e32 v135, v135, v132
	v_bfe_u32 v132, v132, 3, 4
	s_delay_alu instid0(VALU_DEP_2) | instskip(NEXT) | instid1(VALU_DEP_2)
	v_and_b32_e32 v135, 7, v135
	v_cmp_eq_u32_e32 vcc_lo, 0, v132
	s_delay_alu instid0(VALU_DEP_2) | instskip(NEXT) | instid1(VALU_DEP_1)
	v_dual_cndmask_b32 v132, v132, v134 :: v_dual_cndmask_b32 v133, v133, v135
	v_lshl_add_u32 v132, v132, 23, 0x3b800000
	s_delay_alu instid0(VALU_DEP_2) | instskip(NEXT) | instid1(VALU_DEP_1)
	v_lshlrev_b32_e32 v133, 20, v133
	v_or3_b32 v132, v99, v132, v133
.LBB4_476:                              ;   in Loop: Header=BB4_370 Depth=2
	s_or_b32 exec_lo, exec_lo, s8
	s_delay_alu instid0(VALU_DEP_1) | instskip(NEXT) | instid1(VALU_DEP_1)
	v_add_f32_e32 v99, v98, v132
	v_and_b32_e32 v98, 0x7f800000, v99
	s_delay_alu instid0(VALU_DEP_1)
	v_cmp_ne_u32_e32 vcc_lo, 0x7f800000, v98
	v_mov_b32_e32 v98, 0x8000
	s_and_saveexec_b32 s8, vcc_lo
	s_cbranch_execz .LBB4_484
; %bb.477:                              ;   in Loop: Header=BB4_370 Depth=2
	v_mov_b32_e32 v98, 0
	s_mov_b32 s18, exec_lo
	v_cmpx_ne_u32_e32 0, v99
	s_cbranch_execz .LBB4_483
; %bb.478:                              ;   in Loop: Header=BB4_370 Depth=2
	v_bfe_u32 v98, v99, 23, 8
	s_delay_alu instid0(VALU_DEP_1) | instskip(SKIP_1) | instid1(VALU_DEP_2)
	v_sub_nc_u32_e32 v133, 0x78, v98
	v_cmp_gt_u32_e32 vcc_lo, 0x79, v98
	v_dual_cndmask_b32 v133, 0, v133 :: v_dual_and_b32 v132, 0x7fffff, v99
	s_delay_alu instid0(VALU_DEP_1) | instskip(SKIP_2) | instid1(VALU_DEP_4)
	v_or_b32_e32 v134, 0x800000, v132
	v_cmp_eq_u32_e32 vcc_lo, 0, v98
	v_add_nc_u32_e32 v98, 0xffffff89, v98
	v_cndmask_b32_e64 v133, v133, 0x77, vcc_lo
	s_delay_alu instid0(VALU_DEP_2) | instskip(SKIP_1) | instid1(VALU_DEP_3)
	v_cndmask_b32_e64 v98, v98, 0xffffff8a, vcc_lo
	v_cndmask_b32_e32 v132, v134, v132, vcc_lo
	v_lshl_add_u32 v134, 0x100000, v133, -1
	v_lshlrev_b32_e64 v145, v133, 0x80000
	s_delay_alu instid0(VALU_DEP_3) | instskip(SKIP_1) | instid1(VALU_DEP_4)
	v_lshrrev_b32_e32 v135, v133, v132
	v_add_nc_u32_e32 v133, v133, v98
	v_and_b32_e32 v132, v134, v132
	s_delay_alu instid0(VALU_DEP_3) | instskip(NEXT) | instid1(VALU_DEP_2)
	v_bfe_u32 v144, v135, 20, 1
	v_cmp_eq_u32_e64 s7, v132, v145
	s_delay_alu instid0(VALU_DEP_2) | instskip(NEXT) | instid1(VALU_DEP_1)
	v_add_nc_u32_e32 v134, -1, v144
	v_cndmask_b32_e64 v132, 0, v134, s7
	v_lshrrev_b32_e32 v134, 23, v135
	s_mov_b32 s7, exec_lo
	s_delay_alu instid0(VALU_DEP_2) | instskip(NEXT) | instid1(VALU_DEP_2)
	v_add_nc_u32_e32 v132, v132, v135
	v_xor_b32_e32 v134, 1, v134
	s_delay_alu instid0(VALU_DEP_2) | instskip(NEXT) | instid1(VALU_DEP_1)
	v_and_b32_e32 v98, 0xfffff, v132
	v_add_nc_u32_e32 v132, v98, v135
                                        ; implicit-def: $vgpr98
	s_delay_alu instid0(VALU_DEP_3)
	v_cmpx_ne_u32_e64 v133, v134
	s_xor_b32 s7, exec_lo, s7
; %bb.479:                              ;   in Loop: Header=BB4_370 Depth=2
	s_delay_alu instid0(VALU_DEP_2) | instskip(SKIP_2) | instid1(VALU_DEP_2)
	v_cmp_lt_u32_e32 vcc_lo, 0xffffff, v132
	v_sub_nc_u32_e32 v98, v133, v134
	v_cndmask_b32_e64 v133, 0, 1, vcc_lo
	v_add_co_ci_u32_e32 v98, vcc_lo, 0, v98, vcc_lo
	s_delay_alu instid0(VALU_DEP_2)
	v_lshrrev_b32_e32 v132, v133, v132
; %bb.480:                              ;   in Loop: Header=BB4_370 Depth=2
	s_and_not1_saveexec_b32 s7, s7
; %bb.481:                              ;   in Loop: Header=BB4_370 Depth=2
	s_delay_alu instid0(VALU_DEP_1)
	v_bfe_u32 v98, v132, 23, 1
; %bb.482:                              ;   in Loop: Header=BB4_370 Depth=2
	s_or_b32 exec_lo, exec_lo, s7
	v_lshrrev_b32_e32 v132, 20, v132
	s_delay_alu instid0(VALU_DEP_2) | instskip(SKIP_2) | instid1(VALU_DEP_2)
	v_cmp_gt_i32_e32 vcc_lo, 16, v98
	v_min_i32_e32 v133, 15, v98
	v_lshrrev_b32_e32 v99, 24, v99
	v_dual_cndmask_b32 v132, 7, v132 :: v_dual_lshlrev_b32 v133, 3, v133
	s_delay_alu instid0(VALU_DEP_2) | instskip(NEXT) | instid1(VALU_DEP_2)
	v_and_b32_e32 v99, 0x80, v99
	v_or_b32_e32 v98, v98, v132
	v_and_b32_e32 v134, 7, v132
	s_delay_alu instid0(VALU_DEP_2) | instskip(SKIP_1) | instid1(VALU_DEP_1)
	v_cmp_ne_u32_e32 vcc_lo, 0, v98
	v_and_b32_e32 v133, 0xf8, v133
	v_or3_b32 v99, v99, v133, v134
	s_delay_alu instid0(VALU_DEP_1) | instskip(NEXT) | instid1(VALU_DEP_1)
	v_lshlrev_b32_e32 v99, 8, v99
	v_cndmask_b32_e32 v98, 0, v99, vcc_lo
.LBB4_483:                              ;   in Loop: Header=BB4_370 Depth=2
	s_or_b32 exec_lo, exec_lo, s18
.LBB4_484:                              ;   in Loop: Header=BB4_370 Depth=2
	s_delay_alu instid0(SALU_CYCLE_1) | instskip(SKIP_3) | instid1(VALU_DEP_1)
	s_or_b32 exec_lo, exec_lo, s8
	v_lshrrev_b32_e32 v132, 16, v20
	s_mov_b32 s7, 0
	s_mov_b32 s18, exec_lo
                                        ; implicit-def: $sgpr8
	v_and_b32_e32 v133, 0xff, v132
	s_delay_alu instid0(VALU_DEP_1)
	v_cmpx_lt_i16_e64 0x7f, v133
	s_xor_b32 s18, exec_lo, s18
	s_cbranch_execnz .LBB4_582
; %bb.485:                              ;   in Loop: Header=BB4_370 Depth=2
	s_or_saveexec_b32 s18, s18
	v_mov_b32_e32 v99, s8
	s_xor_b32 exec_lo, exec_lo, s18
	s_cbranch_execnz .LBB4_585
.LBB4_486:                              ;   in Loop: Header=BB4_370 Depth=2
	s_or_b32 exec_lo, exec_lo, s18
	s_and_saveexec_b32 s8, s7
	s_cbranch_execz .LBB4_488
.LBB4_487:                              ;   in Loop: Header=BB4_370 Depth=2
	v_bfe_u32 v99, v20, 16, 3
	v_lshlrev_b32_e32 v135, 8, v20
	s_delay_alu instid0(VALU_DEP_2) | instskip(NEXT) | instid1(VALU_DEP_1)
	v_clz_i32_u32_e32 v133, v99
	v_min_u32_e32 v133, 32, v133
	s_delay_alu instid0(VALU_DEP_1) | instskip(SKIP_1) | instid1(VALU_DEP_2)
	v_subrev_nc_u32_e32 v134, 28, v133
	v_sub_nc_u32_e32 v133, 29, v133
	v_lshlrev_b32_e32 v132, v134, v132
	v_bfe_u32 v134, v20, 19, 4
	s_delay_alu instid0(VALU_DEP_1) | instskip(NEXT) | instid1(VALU_DEP_3)
	v_cmp_eq_u32_e32 vcc_lo, 0, v134
	v_dual_cndmask_b32 v133, v134, v133 :: v_dual_and_b32 v132, 7, v132
	s_delay_alu instid0(VALU_DEP_1) | instskip(NEXT) | instid1(VALU_DEP_2)
	v_dual_cndmask_b32 v99, v99, v132 :: v_dual_and_b32 v132, 0x80000000, v135
	v_lshl_add_u32 v133, v133, 23, 0x3b800000
	s_delay_alu instid0(VALU_DEP_2) | instskip(NEXT) | instid1(VALU_DEP_1)
	v_lshlrev_b32_e32 v99, 20, v99
	v_or3_b32 v99, v132, v133, v99
.LBB4_488:                              ;   in Loop: Header=BB4_370 Depth=2
	s_or_b32 exec_lo, exec_lo, s8
	v_lshrrev_b32_e32 v132, 16, v19
	s_mov_b32 s7, 0
	s_mov_b32 s18, exec_lo
                                        ; implicit-def: $sgpr8
	s_delay_alu instid0(VALU_DEP_1) | instskip(NEXT) | instid1(VALU_DEP_1)
	v_and_b32_e32 v134, 0xff, v132
	v_cmpx_lt_i16_e64 0x7f, v134
	s_xor_b32 s18, exec_lo, s18
	s_cbranch_execnz .LBB4_586
; %bb.489:                              ;   in Loop: Header=BB4_370 Depth=2
	s_or_saveexec_b32 s18, s18
	v_mov_b32_e32 v133, s8
	s_xor_b32 exec_lo, exec_lo, s18
	s_cbranch_execnz .LBB4_589
.LBB4_490:                              ;   in Loop: Header=BB4_370 Depth=2
	s_or_b32 exec_lo, exec_lo, s18
	s_and_saveexec_b32 s8, s7
	s_cbranch_execz .LBB4_492
.LBB4_491:                              ;   in Loop: Header=BB4_370 Depth=2
	v_bfe_u32 v133, v19, 16, 3
	v_lshlrev_b32_e32 v144, 8, v19
	s_delay_alu instid0(VALU_DEP_2) | instskip(NEXT) | instid1(VALU_DEP_1)
	v_clz_i32_u32_e32 v134, v133
	v_min_u32_e32 v134, 32, v134
	s_delay_alu instid0(VALU_DEP_1) | instskip(SKIP_1) | instid1(VALU_DEP_2)
	v_subrev_nc_u32_e32 v135, 28, v134
	v_sub_nc_u32_e32 v134, 29, v134
	v_lshlrev_b32_e32 v132, v135, v132
	v_bfe_u32 v135, v19, 19, 4
	s_delay_alu instid0(VALU_DEP_2) | instskip(NEXT) | instid1(VALU_DEP_2)
	v_and_b32_e32 v132, 7, v132
	v_cmp_eq_u32_e32 vcc_lo, 0, v135
	v_cndmask_b32_e32 v134, v135, v134, vcc_lo
	s_delay_alu instid0(VALU_DEP_3) | instskip(SKIP_1) | instid1(VALU_DEP_3)
	v_cndmask_b32_e32 v132, v133, v132, vcc_lo
	v_and_b32_e32 v133, 0x80000000, v144
	v_lshl_add_u32 v134, v134, 23, 0x3b800000
	s_delay_alu instid0(VALU_DEP_3) | instskip(NEXT) | instid1(VALU_DEP_1)
	v_lshlrev_b32_e32 v132, 20, v132
	v_or3_b32 v133, v133, v134, v132
.LBB4_492:                              ;   in Loop: Header=BB4_370 Depth=2
	s_or_b32 exec_lo, exec_lo, s8
	s_delay_alu instid0(VALU_DEP_1) | instskip(NEXT) | instid1(VALU_DEP_1)
	v_add_f32_e32 v132, v99, v133
	v_and_b32_e32 v99, 0x7f800000, v132
	s_delay_alu instid0(VALU_DEP_1)
	v_cmp_ne_u32_e32 vcc_lo, 0x7f800000, v99
	v_mov_b32_e32 v99, 0x80
	s_and_saveexec_b32 s8, vcc_lo
	s_cbranch_execz .LBB4_500
; %bb.493:                              ;   in Loop: Header=BB4_370 Depth=2
	v_mov_b32_e32 v99, 0
	s_mov_b32 s18, exec_lo
	v_cmpx_ne_u32_e32 0, v132
	s_cbranch_execz .LBB4_499
; %bb.494:                              ;   in Loop: Header=BB4_370 Depth=2
	v_bfe_u32 v99, v132, 23, 8
	s_delay_alu instid0(VALU_DEP_1) | instskip(SKIP_1) | instid1(VALU_DEP_2)
	v_sub_nc_u32_e32 v134, 0x78, v99
	v_cmp_gt_u32_e32 vcc_lo, 0x79, v99
	v_dual_cndmask_b32 v134, 0, v134 :: v_dual_and_b32 v133, 0x7fffff, v132
	s_delay_alu instid0(VALU_DEP_1) | instskip(SKIP_2) | instid1(VALU_DEP_4)
	v_or_b32_e32 v135, 0x800000, v133
	v_cmp_eq_u32_e32 vcc_lo, 0, v99
	v_add_nc_u32_e32 v99, 0xffffff89, v99
	v_cndmask_b32_e64 v134, v134, 0x77, vcc_lo
	s_delay_alu instid0(VALU_DEP_2) | instskip(SKIP_1) | instid1(VALU_DEP_3)
	v_cndmask_b32_e64 v99, v99, 0xffffff8a, vcc_lo
	v_cndmask_b32_e32 v133, v135, v133, vcc_lo
	v_lshl_add_u32 v135, 0x100000, v134, -1
	v_lshlrev_b32_e64 v146, v134, 0x80000
	s_delay_alu instid0(VALU_DEP_3) | instskip(SKIP_1) | instid1(VALU_DEP_4)
	v_lshrrev_b32_e32 v144, v134, v133
	v_add_nc_u32_e32 v134, v134, v99
	v_and_b32_e32 v133, v135, v133
	s_delay_alu instid0(VALU_DEP_3) | instskip(NEXT) | instid1(VALU_DEP_2)
	v_bfe_u32 v145, v144, 20, 1
	v_cmp_eq_u32_e64 s7, v133, v146
	s_delay_alu instid0(VALU_DEP_2) | instskip(NEXT) | instid1(VALU_DEP_1)
	v_add_nc_u32_e32 v135, -1, v145
	v_cndmask_b32_e64 v133, 0, v135, s7
	v_lshrrev_b32_e32 v135, 23, v144
	s_mov_b32 s7, exec_lo
	s_delay_alu instid0(VALU_DEP_2) | instskip(NEXT) | instid1(VALU_DEP_2)
	v_add_nc_u32_e32 v133, v133, v144
	v_xor_b32_e32 v135, 1, v135
	s_delay_alu instid0(VALU_DEP_2) | instskip(NEXT) | instid1(VALU_DEP_1)
	v_and_b32_e32 v99, 0xfffff, v133
	v_add_nc_u32_e32 v133, v99, v144
                                        ; implicit-def: $vgpr99
	s_delay_alu instid0(VALU_DEP_3)
	v_cmpx_ne_u32_e64 v134, v135
	s_xor_b32 s7, exec_lo, s7
; %bb.495:                              ;   in Loop: Header=BB4_370 Depth=2
	s_delay_alu instid0(VALU_DEP_2) | instskip(SKIP_2) | instid1(VALU_DEP_2)
	v_cmp_lt_u32_e32 vcc_lo, 0xffffff, v133
	v_sub_nc_u32_e32 v99, v134, v135
	v_cndmask_b32_e64 v134, 0, 1, vcc_lo
	v_add_co_ci_u32_e32 v99, vcc_lo, 0, v99, vcc_lo
	s_delay_alu instid0(VALU_DEP_2)
	v_lshrrev_b32_e32 v133, v134, v133
; %bb.496:                              ;   in Loop: Header=BB4_370 Depth=2
	s_and_not1_saveexec_b32 s7, s7
; %bb.497:                              ;   in Loop: Header=BB4_370 Depth=2
	s_delay_alu instid0(VALU_DEP_1)
	v_bfe_u32 v99, v133, 23, 1
; %bb.498:                              ;   in Loop: Header=BB4_370 Depth=2
	s_or_b32 exec_lo, exec_lo, s7
	v_lshrrev_b32_e32 v133, 20, v133
	s_delay_alu instid0(VALU_DEP_2) | instskip(SKIP_2) | instid1(VALU_DEP_2)
	v_cmp_gt_i32_e32 vcc_lo, 16, v99
	v_min_i32_e32 v134, 15, v99
	v_lshrrev_b32_e32 v132, 24, v132
	v_dual_cndmask_b32 v133, 7, v133 :: v_dual_lshlrev_b32 v134, 3, v134
	s_delay_alu instid0(VALU_DEP_2) | instskip(NEXT) | instid1(VALU_DEP_2)
	v_and_b32_e32 v132, 0x80, v132
	v_or_b32_e32 v99, v99, v133
	v_and_b32_e32 v135, 7, v133
	s_delay_alu instid0(VALU_DEP_2) | instskip(SKIP_1) | instid1(VALU_DEP_1)
	v_cmp_ne_u32_e32 vcc_lo, 0, v99
	v_and_b32_e32 v134, 0xf8, v134
	v_or3_b32 v132, v134, v132, v135
	s_delay_alu instid0(VALU_DEP_1)
	v_cndmask_b32_e32 v99, 0, v132, vcc_lo
.LBB4_499:                              ;   in Loop: Header=BB4_370 Depth=2
	s_or_b32 exec_lo, exec_lo, s18
.LBB4_500:                              ;   in Loop: Header=BB4_370 Depth=2
	s_delay_alu instid0(SALU_CYCLE_1) | instskip(SKIP_3) | instid1(VALU_DEP_1)
	s_or_b32 exec_lo, exec_lo, s8
	v_lshrrev_b32_e32 v133, 24, v20
	s_mov_b32 s7, 0
	s_mov_b32 s18, exec_lo
                                        ; implicit-def: $sgpr8
	v_cmpx_lt_i16_e64 0x7f, v133
	s_xor_b32 s18, exec_lo, s18
	s_cbranch_execnz .LBB4_590
; %bb.501:                              ;   in Loop: Header=BB4_370 Depth=2
	s_or_saveexec_b32 s18, s18
	v_mov_b32_e32 v132, s8
	s_xor_b32 exec_lo, exec_lo, s18
	s_cbranch_execnz .LBB4_593
.LBB4_502:                              ;   in Loop: Header=BB4_370 Depth=2
	s_or_b32 exec_lo, exec_lo, s18
	s_and_saveexec_b32 s8, s7
	s_cbranch_execz .LBB4_504
.LBB4_503:                              ;   in Loop: Header=BB4_370 Depth=2
	v_bfe_u32 v132, v20, 24, 3
	s_delay_alu instid0(VALU_DEP_1) | instskip(NEXT) | instid1(VALU_DEP_1)
	v_clz_i32_u32_e32 v134, v132
	v_min_u32_e32 v134, 32, v134
	s_delay_alu instid0(VALU_DEP_1) | instskip(SKIP_1) | instid1(VALU_DEP_2)
	v_subrev_nc_u32_e32 v135, 28, v134
	v_sub_nc_u32_e32 v134, 29, v134
	v_lshlrev_b32_e32 v133, v135, v133
	v_bfe_u32 v135, v20, 27, 4
	v_and_b32_e32 v20, 0x80000000, v20
	s_delay_alu instid0(VALU_DEP_2) | instskip(NEXT) | instid1(VALU_DEP_4)
	v_cmp_eq_u32_e32 vcc_lo, 0, v135
	v_dual_cndmask_b32 v134, v135, v134 :: v_dual_and_b32 v133, 7, v133
	s_delay_alu instid0(VALU_DEP_1) | instskip(NEXT) | instid1(VALU_DEP_2)
	v_cndmask_b32_e32 v132, v132, v133, vcc_lo
	v_lshl_add_u32 v133, v134, 23, 0x3b800000
	s_delay_alu instid0(VALU_DEP_2) | instskip(NEXT) | instid1(VALU_DEP_1)
	v_lshlrev_b32_e32 v132, 20, v132
	v_or3_b32 v132, v20, v133, v132
.LBB4_504:                              ;   in Loop: Header=BB4_370 Depth=2
	s_or_b32 exec_lo, exec_lo, s8
	v_lshrrev_b32_e32 v20, 24, v19
	s_mov_b32 s7, 0
	s_mov_b32 s18, exec_lo
                                        ; implicit-def: $sgpr8
	s_delay_alu instid0(VALU_DEP_1)
	v_cmpx_lt_i16_e32 0x7f, v20
	s_xor_b32 s18, exec_lo, s18
	s_cbranch_execnz .LBB4_594
; %bb.505:                              ;   in Loop: Header=BB4_370 Depth=2
	s_or_saveexec_b32 s18, s18
	v_mov_b32_e32 v133, s8
	s_xor_b32 exec_lo, exec_lo, s18
	s_cbranch_execnz .LBB4_597
.LBB4_506:                              ;   in Loop: Header=BB4_370 Depth=2
	s_or_b32 exec_lo, exec_lo, s18
	s_and_saveexec_b32 s8, s7
	s_cbranch_execz .LBB4_508
.LBB4_507:                              ;   in Loop: Header=BB4_370 Depth=2
	v_bfe_u32 v133, v19, 24, 3
	s_delay_alu instid0(VALU_DEP_1) | instskip(NEXT) | instid1(VALU_DEP_1)
	v_clz_i32_u32_e32 v134, v133
	v_min_u32_e32 v134, 32, v134
	s_delay_alu instid0(VALU_DEP_1) | instskip(SKIP_1) | instid1(VALU_DEP_2)
	v_subrev_nc_u32_e32 v135, 28, v134
	v_sub_nc_u32_e32 v134, 29, v134
	v_lshlrev_b32_e32 v20, v135, v20
	v_bfe_u32 v135, v19, 27, 4
	v_and_b32_e32 v19, 0x80000000, v19
	s_delay_alu instid0(VALU_DEP_3) | instskip(NEXT) | instid1(VALU_DEP_3)
	v_and_b32_e32 v20, 7, v20
	v_cmp_eq_u32_e32 vcc_lo, 0, v135
	v_cndmask_b32_e32 v134, v135, v134, vcc_lo
	s_delay_alu instid0(VALU_DEP_3) | instskip(NEXT) | instid1(VALU_DEP_2)
	v_cndmask_b32_e32 v20, v133, v20, vcc_lo
	v_lshl_add_u32 v133, v134, 23, 0x3b800000
	s_delay_alu instid0(VALU_DEP_2) | instskip(NEXT) | instid1(VALU_DEP_1)
	v_lshlrev_b32_e32 v20, 20, v20
	v_or3_b32 v133, v19, v133, v20
.LBB4_508:                              ;   in Loop: Header=BB4_370 Depth=2
	s_or_b32 exec_lo, exec_lo, s8
	s_delay_alu instid0(VALU_DEP_1) | instskip(SKIP_1) | instid1(VALU_DEP_1)
	v_dual_add_f32 v19, v132, v133 :: v_dual_mov_b32 v132, 0x8000
	s_mov_b32 s8, exec_lo
	v_and_b32_e32 v20, 0x7f800000, v19
	s_delay_alu instid0(VALU_DEP_1)
	v_cmpx_ne_u32_e32 0x7f800000, v20
	s_cbranch_execz .LBB4_516
; %bb.509:                              ;   in Loop: Header=BB4_370 Depth=2
	v_mov_b32_e32 v132, 0
	s_mov_b32 s18, exec_lo
	v_cmpx_ne_u32_e32 0, v19
	s_cbranch_execz .LBB4_515
; %bb.510:                              ;   in Loop: Header=BB4_370 Depth=2
	v_bfe_u32 v20, v19, 23, 8
	s_delay_alu instid0(VALU_DEP_1) | instskip(SKIP_1) | instid1(VALU_DEP_2)
	v_sub_nc_u32_e32 v133, 0x78, v20
	v_cmp_gt_u32_e32 vcc_lo, 0x79, v20
	v_dual_cndmask_b32 v133, 0, v133 :: v_dual_and_b32 v132, 0x7fffff, v19
	s_delay_alu instid0(VALU_DEP_1) | instskip(SKIP_2) | instid1(VALU_DEP_4)
	v_or_b32_e32 v134, 0x800000, v132
	v_cmp_eq_u32_e32 vcc_lo, 0, v20
	v_add_nc_u32_e32 v20, 0xffffff89, v20
	v_cndmask_b32_e64 v133, v133, 0x77, vcc_lo
	s_delay_alu instid0(VALU_DEP_4) | instskip(NEXT) | instid1(VALU_DEP_3)
	v_cndmask_b32_e32 v132, v134, v132, vcc_lo
	v_cndmask_b32_e64 v20, v20, 0xffffff8a, vcc_lo
	s_delay_alu instid0(VALU_DEP_3) | instskip(NEXT) | instid1(VALU_DEP_3)
	v_lshl_add_u32 v134, 0x100000, v133, -1
	v_lshrrev_b32_e32 v135, v133, v132
	v_lshlrev_b32_e64 v145, v133, 0x80000
	s_delay_alu instid0(VALU_DEP_4) | instskip(NEXT) | instid1(VALU_DEP_4)
	v_add_nc_u32_e32 v133, v133, v20
	v_and_b32_e32 v132, v134, v132
	s_delay_alu instid0(VALU_DEP_4) | instskip(NEXT) | instid1(VALU_DEP_2)
	v_bfe_u32 v144, v135, 20, 1
	v_cmp_eq_u32_e64 s7, v132, v145
	s_delay_alu instid0(VALU_DEP_2) | instskip(NEXT) | instid1(VALU_DEP_1)
	v_add_nc_u32_e32 v134, -1, v144
	v_cndmask_b32_e64 v132, 0, v134, s7
	v_lshrrev_b32_e32 v134, 23, v135
	s_mov_b32 s7, exec_lo
	s_delay_alu instid0(VALU_DEP_2) | instskip(NEXT) | instid1(VALU_DEP_2)
	v_add_nc_u32_e32 v132, v132, v135
	v_xor_b32_e32 v134, 1, v134
	s_delay_alu instid0(VALU_DEP_2) | instskip(NEXT) | instid1(VALU_DEP_1)
	v_and_b32_e32 v20, 0xfffff, v132
	v_add_nc_u32_e32 v132, v20, v135
                                        ; implicit-def: $vgpr20
	s_delay_alu instid0(VALU_DEP_3)
	v_cmpx_ne_u32_e64 v133, v134
	s_xor_b32 s7, exec_lo, s7
; %bb.511:                              ;   in Loop: Header=BB4_370 Depth=2
	s_delay_alu instid0(VALU_DEP_2) | instskip(SKIP_2) | instid1(VALU_DEP_2)
	v_cmp_lt_u32_e32 vcc_lo, 0xffffff, v132
	v_sub_nc_u32_e32 v20, v133, v134
	v_cndmask_b32_e64 v133, 0, 1, vcc_lo
	v_add_co_ci_u32_e32 v20, vcc_lo, 0, v20, vcc_lo
	s_delay_alu instid0(VALU_DEP_2)
	v_lshrrev_b32_e32 v132, v133, v132
; %bb.512:                              ;   in Loop: Header=BB4_370 Depth=2
	s_and_not1_saveexec_b32 s7, s7
; %bb.513:                              ;   in Loop: Header=BB4_370 Depth=2
	s_delay_alu instid0(VALU_DEP_1)
	v_bfe_u32 v20, v132, 23, 1
; %bb.514:                              ;   in Loop: Header=BB4_370 Depth=2
	s_or_b32 exec_lo, exec_lo, s7
	v_lshrrev_b32_e32 v132, 20, v132
	s_delay_alu instid0(VALU_DEP_2) | instskip(SKIP_2) | instid1(VALU_DEP_2)
	v_cmp_gt_i32_e32 vcc_lo, 16, v20
	v_min_i32_e32 v133, 15, v20
	v_lshrrev_b32_e32 v19, 24, v19
	v_dual_cndmask_b32 v132, 7, v132 :: v_dual_lshlrev_b32 v133, 3, v133
	s_delay_alu instid0(VALU_DEP_2) | instskip(NEXT) | instid1(VALU_DEP_2)
	v_and_b32_e32 v19, 0x80, v19
	v_or_b32_e32 v20, v20, v132
	v_and_b32_e32 v134, 7, v132
	s_delay_alu instid0(VALU_DEP_2) | instskip(SKIP_1) | instid1(VALU_DEP_1)
	v_cmp_ne_u32_e32 vcc_lo, 0, v20
	v_and_b32_e32 v133, 0xf8, v133
	v_or3_b32 v19, v19, v133, v134
	s_delay_alu instid0(VALU_DEP_1) | instskip(NEXT) | instid1(VALU_DEP_1)
	v_lshlrev_b32_e32 v19, 8, v19
	v_cndmask_b32_e32 v132, 0, v19, vcc_lo
.LBB4_515:                              ;   in Loop: Header=BB4_370 Depth=2
	s_or_b32 exec_lo, exec_lo, s18
.LBB4_516:                              ;   in Loop: Header=BB4_370 Depth=2
	s_delay_alu instid0(SALU_CYCLE_1)
	s_or_b32 exec_lo, exec_lo, s8
	v_cmp_lt_u32_e32 vcc_lo, 7, v131
	v_and_or_b32 v20, 0xff, v97, v98
	v_or_b32_e32 v97, v132, v99
	v_cndmask_b32_e64 v19, 0, 1, vcc_lo
	;;#ASMSTART
	;;#ASMEND
	s_delay_alu instid0(VALU_DEP_1) | instskip(NEXT) | instid1(VALU_DEP_3)
	v_cmp_ne_u32_e64 s7, 0, v19
	v_lshl_or_b32 v19, v97, 16, v20
	s_delay_alu instid0(VALU_DEP_2)
	s_cmp_lg_u32 s7, exec_lo
	s_mov_b32 s7, -1
	s_cbranch_scc0 .LBB4_532
; %bb.517:                              ;   in Loop: Header=BB4_370 Depth=2
	s_mov_b32 s8, exec_lo
	flat_store_b8 v[80:81], v21
	v_cmpx_ne_u32_e32 1, v131
	s_cbranch_execz .LBB4_519
; %bb.518:                              ;   in Loop: Header=BB4_370 Depth=2
	flat_store_b8 v[80:81], v83 offset:1
.LBB4_519:                              ;   in Loop: Header=BB4_370 Depth=2
	s_or_b32 exec_lo, exec_lo, s8
	s_delay_alu instid0(SALU_CYCLE_1)
	s_mov_b32 s8, exec_lo
	v_cmpx_lt_u32_e32 2, v131
	s_cbranch_execz .LBB4_521
; %bb.520:                              ;   in Loop: Header=BB4_370 Depth=2
	flat_store_b8 v[80:81], v84 offset:2
.LBB4_521:                              ;   in Loop: Header=BB4_370 Depth=2
	s_or_b32 exec_lo, exec_lo, s8
	s_delay_alu instid0(SALU_CYCLE_1)
	s_mov_b32 s8, exec_lo
	v_cmpx_lt_u32_e32 3, v131
	;; [unrolled: 8-line block ×4, first 2 shown]
	s_cbranch_execz .LBB4_527
; %bb.526:                              ;   in Loop: Header=BB4_370 Depth=2
	v_lshrrev_b32_e32 v20, 8, v98
	flat_store_b8 v[80:81], v20 offset:5
.LBB4_527:                              ;   in Loop: Header=BB4_370 Depth=2
	s_or_b32 exec_lo, exec_lo, s8
	s_delay_alu instid0(SALU_CYCLE_1)
	s_mov_b32 s8, exec_lo
	v_cmpx_lt_u32_e32 6, v131
	s_cbranch_execz .LBB4_529
; %bb.528:                              ;   in Loop: Header=BB4_370 Depth=2
	flat_store_d16_hi_b8 v[80:81], v19 offset:6
.LBB4_529:                              ;   in Loop: Header=BB4_370 Depth=2
	s_or_b32 exec_lo, exec_lo, s8
	s_and_saveexec_b32 s7, vcc_lo
	s_cbranch_execz .LBB4_531
; %bb.530:                              ;   in Loop: Header=BB4_370 Depth=2
	v_lshrrev_b32_e32 v20, 24, v19
	flat_store_b8 v[80:81], v20 offset:7
.LBB4_531:                              ;   in Loop: Header=BB4_370 Depth=2
	s_or_b32 exec_lo, exec_lo, s7
	s_mov_b32 s7, 0
.LBB4_532:                              ;   in Loop: Header=BB4_370 Depth=2
	s_delay_alu instid0(SALU_CYCLE_1)
	s_and_b32 vcc_lo, exec_lo, s7
	s_cbranch_vccz .LBB4_369
; %bb.533:                              ;   in Loop: Header=BB4_370 Depth=2
	v_perm_b32 v18, v18, v84, 0x6050400
	v_lshlrev_b32_e32 v20, 8, v83
	s_delay_alu instid0(VALU_DEP_2) | instskip(NEXT) | instid1(VALU_DEP_1)
	v_perm_b32 v18, v18, v21, 0x5040c00
	v_and_or_b32 v18, 0xff00, v20, v18
	global_store_b64 v[80:81], v[18:19], off
	s_branch .LBB4_369
.LBB4_534:                              ;   in Loop: Header=BB4_370 Depth=2
	s_mov_b32 s7, -1
	s_mov_b32 s19, exec_lo
                                        ; implicit-def: $sgpr8
	v_cmpx_eq_u16_e32 0x80, v19
; %bb.535:                              ;   in Loop: Header=BB4_370 Depth=2
	s_mov_b32 s8, 0x7f800001
	s_xor_b32 s7, exec_lo, -1
; %bb.536:                              ;   in Loop: Header=BB4_370 Depth=2
	s_or_b32 exec_lo, exec_lo, s19
	s_delay_alu instid0(SALU_CYCLE_1)
	s_and_b32 s7, s7, exec_lo
                                        ; implicit-def: $vgpr19
	s_or_saveexec_b32 s18, s18
	v_mov_b32_e32 v21, s8
	s_xor_b32 exec_lo, exec_lo, s18
	s_cbranch_execz .LBB4_390
.LBB4_537:                              ;   in Loop: Header=BB4_370 Depth=2
	v_cmp_ne_u16_e32 vcc_lo, 0, v19
	v_mov_b32_e32 v21, 0
	s_and_not1_b32 s7, s7, exec_lo
	s_and_b32 s8, vcc_lo, exec_lo
	s_delay_alu instid0(SALU_CYCLE_1)
	s_or_b32 s7, s7, s8
	s_or_b32 exec_lo, exec_lo, s18
	s_and_saveexec_b32 s8, s7
	s_cbranch_execnz .LBB4_391
	s_branch .LBB4_392
.LBB4_538:                              ;   in Loop: Header=BB4_370 Depth=2
	s_mov_b32 s7, -1
	s_mov_b32 s19, exec_lo
                                        ; implicit-def: $sgpr8
	v_cmpx_eq_u16_e32 0x80, v84
; %bb.539:                              ;   in Loop: Header=BB4_370 Depth=2
	s_mov_b32 s8, 0x7f800001
	s_xor_b32 s7, exec_lo, -1
; %bb.540:                              ;   in Loop: Header=BB4_370 Depth=2
	s_or_b32 exec_lo, exec_lo, s19
	s_delay_alu instid0(SALU_CYCLE_1)
	s_and_b32 s7, s7, exec_lo
                                        ; implicit-def: $vgpr84
	s_or_saveexec_b32 s18, s18
	v_mov_b32_e32 v83, s8
	s_xor_b32 exec_lo, exec_lo, s18
	s_cbranch_execz .LBB4_394
.LBB4_541:                              ;   in Loop: Header=BB4_370 Depth=2
	v_cmp_ne_u16_e32 vcc_lo, 0, v84
	v_mov_b32_e32 v83, 0
	s_and_not1_b32 s7, s7, exec_lo
	s_and_b32 s8, vcc_lo, exec_lo
	s_delay_alu instid0(SALU_CYCLE_1)
	s_or_b32 s7, s7, s8
	s_or_b32 exec_lo, exec_lo, s18
	s_and_saveexec_b32 s8, s7
	s_cbranch_execnz .LBB4_395
	s_branch .LBB4_396
.LBB4_542:                              ;   in Loop: Header=BB4_370 Depth=2
	s_mov_b32 s7, -1
	s_mov_b32 s19, exec_lo
                                        ; implicit-def: $sgpr8
	v_cmpx_eq_u16_e32 0x80, v84
; %bb.543:                              ;   in Loop: Header=BB4_370 Depth=2
	s_mov_b32 s8, 0x7f800001
	s_xor_b32 s7, exec_lo, -1
; %bb.544:                              ;   in Loop: Header=BB4_370 Depth=2
	s_or_b32 exec_lo, exec_lo, s19
	s_delay_alu instid0(SALU_CYCLE_1)
	s_and_b32 s7, s7, exec_lo
	s_or_saveexec_b32 s18, s18
	v_mov_b32_e32 v83, s8
	s_xor_b32 exec_lo, exec_lo, s18
	s_cbranch_execz .LBB4_406
.LBB4_545:                              ;   in Loop: Header=BB4_370 Depth=2
	v_cmp_ne_u16_e32 vcc_lo, 0, v84
	v_mov_b32_e32 v83, 0
	s_and_not1_b32 s7, s7, exec_lo
	s_and_b32 s8, vcc_lo, exec_lo
	s_delay_alu instid0(SALU_CYCLE_1)
	s_or_b32 s7, s7, s8
	s_or_b32 exec_lo, exec_lo, s18
	s_and_saveexec_b32 s8, s7
	s_cbranch_execnz .LBB4_407
	s_branch .LBB4_408
.LBB4_546:                              ;   in Loop: Header=BB4_370 Depth=2
	s_mov_b32 s7, -1
	s_mov_b32 s19, exec_lo
                                        ; implicit-def: $sgpr8
	v_cmpx_eq_u16_e32 0x80, v84
; %bb.547:                              ;   in Loop: Header=BB4_370 Depth=2
	s_mov_b32 s8, 0x7f800001
	s_xor_b32 s7, exec_lo, -1
; %bb.548:                              ;   in Loop: Header=BB4_370 Depth=2
	s_or_b32 exec_lo, exec_lo, s19
	s_delay_alu instid0(SALU_CYCLE_1)
	s_and_b32 s7, s7, exec_lo
	s_or_saveexec_b32 s18, s18
	v_mov_b32_e32 v132, s8
	s_xor_b32 exec_lo, exec_lo, s18
	s_cbranch_execz .LBB4_410
.LBB4_549:                              ;   in Loop: Header=BB4_370 Depth=2
	v_cmp_ne_u16_e32 vcc_lo, 0, v84
	v_mov_b32_e32 v132, 0
	s_and_not1_b32 s7, s7, exec_lo
	s_and_b32 s8, vcc_lo, exec_lo
	s_delay_alu instid0(SALU_CYCLE_1)
	s_or_b32 s7, s7, s8
	s_or_b32 exec_lo, exec_lo, s18
	s_and_saveexec_b32 s8, s7
	s_cbranch_execnz .LBB4_411
	s_branch .LBB4_412
.LBB4_550:                              ;   in Loop: Header=BB4_370 Depth=2
	s_mov_b32 s7, -1
	s_mov_b32 s19, exec_lo
                                        ; implicit-def: $sgpr8
	v_cmpx_eq_u16_e64 0x80, v133
; %bb.551:                              ;   in Loop: Header=BB4_370 Depth=2
	s_mov_b32 s8, 0x7f800001
	s_xor_b32 s7, exec_lo, -1
; %bb.552:                              ;   in Loop: Header=BB4_370 Depth=2
	s_or_b32 exec_lo, exec_lo, s19
	s_delay_alu instid0(SALU_CYCLE_1)
	s_and_b32 s7, s7, exec_lo
                                        ; implicit-def: $vgpr133
	s_or_saveexec_b32 s18, s18
	v_mov_b32_e32 v84, s8
	s_xor_b32 exec_lo, exec_lo, s18
	s_cbranch_execz .LBB4_422
.LBB4_553:                              ;   in Loop: Header=BB4_370 Depth=2
	v_cmp_ne_u16_e64 vcc_lo, 0, v133
	v_mov_b32_e32 v84, 0
	s_and_not1_b32 s7, s7, exec_lo
	s_delay_alu instid0(VALU_DEP_2) | instskip(NEXT) | instid1(SALU_CYCLE_1)
	s_and_b32 s8, vcc_lo, exec_lo
	s_or_b32 s7, s7, s8
	s_or_b32 exec_lo, exec_lo, s18
	s_and_saveexec_b32 s8, s7
	s_cbranch_execnz .LBB4_423
	s_branch .LBB4_424
.LBB4_554:                              ;   in Loop: Header=BB4_370 Depth=2
	s_mov_b32 s7, -1
	s_mov_b32 s19, exec_lo
                                        ; implicit-def: $sgpr8
	v_cmpx_eq_u16_e64 0x80, v134
; %bb.555:                              ;   in Loop: Header=BB4_370 Depth=2
	s_mov_b32 s8, 0x7f800001
	s_xor_b32 s7, exec_lo, -1
; %bb.556:                              ;   in Loop: Header=BB4_370 Depth=2
	s_or_b32 exec_lo, exec_lo, s19
	s_delay_alu instid0(SALU_CYCLE_1)
	s_and_b32 s7, s7, exec_lo
                                        ; implicit-def: $vgpr134
	s_or_saveexec_b32 s18, s18
	v_mov_b32_e32 v133, s8
	s_xor_b32 exec_lo, exec_lo, s18
	s_cbranch_execz .LBB4_426
.LBB4_557:                              ;   in Loop: Header=BB4_370 Depth=2
	v_cmp_ne_u16_e64 vcc_lo, 0, v134
	v_mov_b32_e32 v133, 0
	s_and_not1_b32 s7, s7, exec_lo
	s_delay_alu instid0(VALU_DEP_2) | instskip(NEXT) | instid1(SALU_CYCLE_1)
	s_and_b32 s8, vcc_lo, exec_lo
	s_or_b32 s7, s7, s8
	s_or_b32 exec_lo, exec_lo, s18
	s_and_saveexec_b32 s8, s7
	s_cbranch_execnz .LBB4_427
	s_branch .LBB4_428
.LBB4_558:                              ;   in Loop: Header=BB4_370 Depth=2
	s_mov_b32 s7, -1
	s_mov_b32 s19, exec_lo
                                        ; implicit-def: $sgpr8
	v_cmpx_eq_u16_e64 0x80, v133
; %bb.559:                              ;   in Loop: Header=BB4_370 Depth=2
	s_mov_b32 s8, 0x7f800001
	s_xor_b32 s7, exec_lo, -1
; %bb.560:                              ;   in Loop: Header=BB4_370 Depth=2
	s_or_b32 exec_lo, exec_lo, s19
	s_delay_alu instid0(SALU_CYCLE_1)
	s_and_b32 s7, s7, exec_lo
	s_or_saveexec_b32 s18, s18
	v_mov_b32_e32 v132, s8
	s_xor_b32 exec_lo, exec_lo, s18
	s_cbranch_execz .LBB4_438
.LBB4_561:                              ;   in Loop: Header=BB4_370 Depth=2
	v_cmp_ne_u16_e64 vcc_lo, 0, v133
	v_mov_b32_e32 v132, 0
	s_and_not1_b32 s7, s7, exec_lo
	s_delay_alu instid0(VALU_DEP_2) | instskip(NEXT) | instid1(SALU_CYCLE_1)
	s_and_b32 s8, vcc_lo, exec_lo
	s_or_b32 s7, s7, s8
	s_or_b32 exec_lo, exec_lo, s18
	s_and_saveexec_b32 s8, s7
	s_cbranch_execnz .LBB4_439
	s_branch .LBB4_440
.LBB4_562:                              ;   in Loop: Header=BB4_370 Depth=2
	s_mov_b32 s7, -1
	s_mov_b32 s19, exec_lo
                                        ; implicit-def: $sgpr8
	v_cmpx_eq_u16_e32 0x80, v18
; %bb.563:                              ;   in Loop: Header=BB4_370 Depth=2
	s_mov_b32 s8, 0x7f800001
	s_xor_b32 s7, exec_lo, -1
; %bb.564:                              ;   in Loop: Header=BB4_370 Depth=2
	s_or_b32 exec_lo, exec_lo, s19
	s_delay_alu instid0(SALU_CYCLE_1)
	s_and_b32 s7, s7, exec_lo
	s_or_saveexec_b32 s18, s18
	v_mov_b32_e32 v133, s8
	s_xor_b32 exec_lo, exec_lo, s18
	s_cbranch_execz .LBB4_442
.LBB4_565:                              ;   in Loop: Header=BB4_370 Depth=2
	v_cmp_ne_u16_e32 vcc_lo, 0, v18
	v_mov_b32_e32 v133, 0
	s_and_not1_b32 s7, s7, exec_lo
	s_and_b32 s8, vcc_lo, exec_lo
	s_delay_alu instid0(SALU_CYCLE_1)
	s_or_b32 s7, s7, s8
	s_or_b32 exec_lo, exec_lo, s18
	s_and_saveexec_b32 s8, s7
	s_cbranch_execnz .LBB4_443
	s_branch .LBB4_444
.LBB4_566:                              ;   in Loop: Header=BB4_370 Depth=2
	s_mov_b32 s7, -1
	s_mov_b32 s19, exec_lo
                                        ; implicit-def: $sgpr8
	v_cmpx_eq_u16_e32 0x80, v99
; %bb.567:                              ;   in Loop: Header=BB4_370 Depth=2
	s_mov_b32 s8, 0x7f800001
	s_xor_b32 s7, exec_lo, -1
; %bb.568:                              ;   in Loop: Header=BB4_370 Depth=2
	s_or_b32 exec_lo, exec_lo, s19
	s_delay_alu instid0(SALU_CYCLE_1)
	s_and_b32 s7, s7, exec_lo
                                        ; implicit-def: $vgpr99
	s_or_saveexec_b32 s18, s18
	v_mov_b32_e32 v132, s8
	s_xor_b32 exec_lo, exec_lo, s18
	s_cbranch_execz .LBB4_454
.LBB4_569:                              ;   in Loop: Header=BB4_370 Depth=2
	v_cmp_ne_u16_e32 vcc_lo, 0, v99
	v_mov_b32_e32 v132, 0
	s_and_not1_b32 s7, s7, exec_lo
	s_and_b32 s8, vcc_lo, exec_lo
	s_delay_alu instid0(SALU_CYCLE_1)
	s_or_b32 s7, s7, s8
	s_or_b32 exec_lo, exec_lo, s18
	s_and_saveexec_b32 s8, s7
	s_cbranch_execnz .LBB4_455
	s_branch .LBB4_456
.LBB4_570:                              ;   in Loop: Header=BB4_370 Depth=2
	s_mov_b32 s7, -1
	s_mov_b32 s19, exec_lo
                                        ; implicit-def: $sgpr8
	v_cmpx_eq_u16_e32 0x80, v98
; %bb.571:                              ;   in Loop: Header=BB4_370 Depth=2
	s_mov_b32 s8, 0x7f800001
	s_xor_b32 s7, exec_lo, -1
; %bb.572:                              ;   in Loop: Header=BB4_370 Depth=2
	s_or_b32 exec_lo, exec_lo, s19
	s_delay_alu instid0(SALU_CYCLE_1)
	s_and_b32 s7, s7, exec_lo
                                        ; implicit-def: $vgpr98
	s_or_saveexec_b32 s18, s18
	v_mov_b32_e32 v97, s8
	s_xor_b32 exec_lo, exec_lo, s18
	s_cbranch_execz .LBB4_458
.LBB4_573:                              ;   in Loop: Header=BB4_370 Depth=2
	v_cmp_ne_u16_e32 vcc_lo, 0, v98
	v_mov_b32_e32 v97, 0
	s_and_not1_b32 s7, s7, exec_lo
	s_and_b32 s8, vcc_lo, exec_lo
	s_delay_alu instid0(SALU_CYCLE_1)
	s_or_b32 s7, s7, s8
	s_or_b32 exec_lo, exec_lo, s18
	s_and_saveexec_b32 s8, s7
	s_cbranch_execnz .LBB4_459
	s_branch .LBB4_460
.LBB4_574:                              ;   in Loop: Header=BB4_370 Depth=2
	s_mov_b32 s7, -1
	s_mov_b32 s19, exec_lo
                                        ; implicit-def: $sgpr8
	v_cmpx_eq_u16_e32 0x80, v99
; %bb.575:                              ;   in Loop: Header=BB4_370 Depth=2
	s_mov_b32 s8, 0x7f800001
	s_xor_b32 s7, exec_lo, -1
; %bb.576:                              ;   in Loop: Header=BB4_370 Depth=2
	s_or_b32 exec_lo, exec_lo, s19
	s_delay_alu instid0(SALU_CYCLE_1)
	s_and_b32 s7, s7, exec_lo
	s_or_saveexec_b32 s18, s18
	v_mov_b32_e32 v98, s8
	s_xor_b32 exec_lo, exec_lo, s18
	s_cbranch_execz .LBB4_470
.LBB4_577:                              ;   in Loop: Header=BB4_370 Depth=2
	v_cmp_ne_u16_e32 vcc_lo, 0, v99
	v_mov_b32_e32 v98, 0
	s_and_not1_b32 s7, s7, exec_lo
	s_and_b32 s8, vcc_lo, exec_lo
	s_delay_alu instid0(SALU_CYCLE_1)
	s_or_b32 s7, s7, s8
	s_or_b32 exec_lo, exec_lo, s18
	s_and_saveexec_b32 s8, s7
	s_cbranch_execnz .LBB4_471
	s_branch .LBB4_472
.LBB4_578:                              ;   in Loop: Header=BB4_370 Depth=2
	s_mov_b32 s7, -1
	s_mov_b32 s19, exec_lo
                                        ; implicit-def: $sgpr8
	v_cmpx_eq_u16_e32 0x80, v99
; %bb.579:                              ;   in Loop: Header=BB4_370 Depth=2
	s_mov_b32 s8, 0x7f800001
	s_xor_b32 s7, exec_lo, -1
; %bb.580:                              ;   in Loop: Header=BB4_370 Depth=2
	s_or_b32 exec_lo, exec_lo, s19
	s_delay_alu instid0(SALU_CYCLE_1)
	s_and_b32 s7, s7, exec_lo
	s_or_saveexec_b32 s18, s18
	v_mov_b32_e32 v132, s8
	s_xor_b32 exec_lo, exec_lo, s18
	s_cbranch_execz .LBB4_474
.LBB4_581:                              ;   in Loop: Header=BB4_370 Depth=2
	v_cmp_ne_u16_e32 vcc_lo, 0, v99
	v_mov_b32_e32 v132, 0
	s_and_not1_b32 s7, s7, exec_lo
	s_and_b32 s8, vcc_lo, exec_lo
	s_delay_alu instid0(SALU_CYCLE_1)
	s_or_b32 s7, s7, s8
	s_or_b32 exec_lo, exec_lo, s18
	s_and_saveexec_b32 s8, s7
	s_cbranch_execnz .LBB4_475
	s_branch .LBB4_476
.LBB4_582:                              ;   in Loop: Header=BB4_370 Depth=2
	s_mov_b32 s7, -1
	s_mov_b32 s19, exec_lo
                                        ; implicit-def: $sgpr8
	v_cmpx_eq_u16_e64 0x80, v133
; %bb.583:                              ;   in Loop: Header=BB4_370 Depth=2
	s_mov_b32 s8, 0x7f800001
	s_xor_b32 s7, exec_lo, -1
; %bb.584:                              ;   in Loop: Header=BB4_370 Depth=2
	s_or_b32 exec_lo, exec_lo, s19
	s_delay_alu instid0(SALU_CYCLE_1)
	s_and_b32 s7, s7, exec_lo
                                        ; implicit-def: $vgpr133
	s_or_saveexec_b32 s18, s18
	v_mov_b32_e32 v99, s8
	s_xor_b32 exec_lo, exec_lo, s18
	s_cbranch_execz .LBB4_486
.LBB4_585:                              ;   in Loop: Header=BB4_370 Depth=2
	v_cmp_ne_u16_e64 vcc_lo, 0, v133
	v_mov_b32_e32 v99, 0
	s_and_not1_b32 s7, s7, exec_lo
	s_delay_alu instid0(VALU_DEP_2) | instskip(NEXT) | instid1(SALU_CYCLE_1)
	s_and_b32 s8, vcc_lo, exec_lo
	s_or_b32 s7, s7, s8
	s_or_b32 exec_lo, exec_lo, s18
	s_and_saveexec_b32 s8, s7
	s_cbranch_execnz .LBB4_487
	s_branch .LBB4_488
.LBB4_586:                              ;   in Loop: Header=BB4_370 Depth=2
	s_mov_b32 s7, -1
	s_mov_b32 s19, exec_lo
                                        ; implicit-def: $sgpr8
	v_cmpx_eq_u16_e64 0x80, v134
; %bb.587:                              ;   in Loop: Header=BB4_370 Depth=2
	s_mov_b32 s8, 0x7f800001
	s_xor_b32 s7, exec_lo, -1
; %bb.588:                              ;   in Loop: Header=BB4_370 Depth=2
	s_or_b32 exec_lo, exec_lo, s19
	s_delay_alu instid0(SALU_CYCLE_1)
	s_and_b32 s7, s7, exec_lo
                                        ; implicit-def: $vgpr134
	s_or_saveexec_b32 s18, s18
	v_mov_b32_e32 v133, s8
	s_xor_b32 exec_lo, exec_lo, s18
	s_cbranch_execz .LBB4_490
.LBB4_589:                              ;   in Loop: Header=BB4_370 Depth=2
	v_cmp_ne_u16_e64 vcc_lo, 0, v134
	v_mov_b32_e32 v133, 0
	s_and_not1_b32 s7, s7, exec_lo
	s_delay_alu instid0(VALU_DEP_2) | instskip(NEXT) | instid1(SALU_CYCLE_1)
	s_and_b32 s8, vcc_lo, exec_lo
	s_or_b32 s7, s7, s8
	s_or_b32 exec_lo, exec_lo, s18
	s_and_saveexec_b32 s8, s7
	s_cbranch_execnz .LBB4_491
	s_branch .LBB4_492
.LBB4_590:                              ;   in Loop: Header=BB4_370 Depth=2
	s_mov_b32 s7, -1
	s_mov_b32 s19, exec_lo
                                        ; implicit-def: $sgpr8
	v_cmpx_eq_u16_e64 0x80, v133
; %bb.591:                              ;   in Loop: Header=BB4_370 Depth=2
	s_mov_b32 s8, 0x7f800001
	s_xor_b32 s7, exec_lo, -1
; %bb.592:                              ;   in Loop: Header=BB4_370 Depth=2
	s_or_b32 exec_lo, exec_lo, s19
	s_delay_alu instid0(SALU_CYCLE_1)
	s_and_b32 s7, s7, exec_lo
	s_or_saveexec_b32 s18, s18
	v_mov_b32_e32 v132, s8
	s_xor_b32 exec_lo, exec_lo, s18
	s_cbranch_execz .LBB4_502
.LBB4_593:                              ;   in Loop: Header=BB4_370 Depth=2
	v_cmp_ne_u16_e64 vcc_lo, 0, v133
	v_mov_b32_e32 v132, 0
	s_and_not1_b32 s7, s7, exec_lo
	s_delay_alu instid0(VALU_DEP_2) | instskip(NEXT) | instid1(SALU_CYCLE_1)
	s_and_b32 s8, vcc_lo, exec_lo
	s_or_b32 s7, s7, s8
	s_or_b32 exec_lo, exec_lo, s18
	s_and_saveexec_b32 s8, s7
	s_cbranch_execnz .LBB4_503
	s_branch .LBB4_504
.LBB4_594:                              ;   in Loop: Header=BB4_370 Depth=2
	s_mov_b32 s7, -1
	s_mov_b32 s19, exec_lo
                                        ; implicit-def: $sgpr8
	v_cmpx_eq_u16_e32 0x80, v20
; %bb.595:                              ;   in Loop: Header=BB4_370 Depth=2
	s_mov_b32 s8, 0x7f800001
	s_xor_b32 s7, exec_lo, -1
; %bb.596:                              ;   in Loop: Header=BB4_370 Depth=2
	s_or_b32 exec_lo, exec_lo, s19
	s_delay_alu instid0(SALU_CYCLE_1)
	s_and_b32 s7, s7, exec_lo
	s_or_saveexec_b32 s18, s18
	v_mov_b32_e32 v133, s8
	s_xor_b32 exec_lo, exec_lo, s18
	s_cbranch_execz .LBB4_506
.LBB4_597:                              ;   in Loop: Header=BB4_370 Depth=2
	v_cmp_ne_u16_e32 vcc_lo, 0, v20
	v_mov_b32_e32 v133, 0
	s_and_not1_b32 s7, s7, exec_lo
	s_and_b32 s8, vcc_lo, exec_lo
	s_delay_alu instid0(SALU_CYCLE_1)
	s_or_b32 s7, s7, s8
	s_or_b32 exec_lo, exec_lo, s18
	s_and_saveexec_b32 s8, s7
	s_cbranch_execnz .LBB4_507
	s_branch .LBB4_508
.LBB4_598:                              ;   in Loop: Header=BB4_32 Depth=1
	s_or_b32 exec_lo, exec_lo, s17
.LBB4_599:                              ;   in Loop: Header=BB4_32 Depth=1
	s_delay_alu instid0(SALU_CYCLE_1)
	s_or_b32 exec_lo, exec_lo, s9
	s_and_saveexec_b32 s7, s3
	s_cbranch_execz .LBB4_621
; %bb.600:                              ;   in Loop: Header=BB4_32 Depth=1
	s_and_saveexec_b32 s8, s4
	s_delay_alu instid0(SALU_CYCLE_1)
	s_xor_b32 s8, exec_lo, s8
	s_cbranch_execz .LBB4_618
; %bb.601:                              ;   in Loop: Header=BB4_32 Depth=1
	s_and_saveexec_b32 s9, s5
	s_cbranch_execz .LBB4_617
; %bb.602:                              ;   in Loop: Header=BB4_32 Depth=1
	s_mov_b32 s18, exec_lo
	s_mov_b32 s17, exec_lo
	v_mbcnt_lo_u32_b32 v18, s18, 0
	s_waitcnt vmcnt(0) lgkmcnt(0)
	s_waitcnt_vscnt null, 0x0
	buffer_gl1_inv
	buffer_gl0_inv
	v_cmpx_eq_u32_e32 0, v18
	s_cbranch_execz .LBB4_604
; %bb.603:                              ;   in Loop: Header=BB4_32 Depth=1
	s_bcnt1_i32_b32 s18, s18
	s_delay_alu instid0(SALU_CYCLE_1)
	v_mov_b32_e32 v64, s18
	ds_add_u64 v0, v[64:65]
	s_cbranch_execnz .LBB4_690
.LBB4_604:                              ;   in Loop: Header=BB4_32 Depth=1
	s_or_b32 exec_lo, exec_lo, s17
	s_cbranch_execnz .LBB4_678
; %bb.605:                              ;   in Loop: Header=BB4_32 Depth=1
	ds_load_b64 v[18:19], v0
	v_add_co_u32 v2, vcc_lo, v2, v101
	v_add_co_ci_u32_e32 v3, vcc_lo, v3, v112, vcc_lo
	s_mov_b32 s17, exec_lo
	s_waitcnt lgkmcnt(0)
	s_delay_alu instid0(VALU_DEP_1)
	v_cmpx_lt_u64_e64 v[18:19], v[2:3]
	s_cbranch_execz .LBB4_616
; %bb.606:                              ;   in Loop: Header=BB4_32 Depth=1
	s_mov_b32 s18, 0
	s_mov_b32 s21, 0
                                        ; implicit-def: $sgpr19
                                        ; implicit-def: $sgpr20
	s_branch .LBB4_608
.LBB4_607:                              ;   in Loop: Header=BB4_608 Depth=2
	s_or_b32 exec_lo, exec_lo, s24
	s_delay_alu instid0(SALU_CYCLE_1) | instskip(NEXT) | instid1(SALU_CYCLE_1)
	s_and_b32 s22, exec_lo, s23
	s_or_b32 s18, s22, s18
	s_and_not1_b32 s19, s19, exec_lo
	s_and_b32 s22, s20, exec_lo
	s_delay_alu instid0(SALU_CYCLE_1)
	s_or_b32 s19, s19, s22
	s_and_not1_b32 exec_lo, exec_lo, s18
	s_cbranch_execz .LBB4_614
.LBB4_608:                              ;   Parent Loop BB4_32 Depth=1
                                        ; =>  This Inner Loop Header: Depth=2
	s_add_i32 s21, s21, 1
                                        ; implicit-def: $sgpr23
	s_delay_alu instid0(SALU_CYCLE_1) | instskip(SKIP_1) | instid1(SALU_CYCLE_1)
	s_cmpk_lg_i32 s21, 0x2710
	s_cselect_b32 s22, -1, 0
	s_and_b32 vcc_lo, exec_lo, s22
	s_cbranch_vccz .LBB4_612
.LBB4_609:                              ;   in Loop: Header=BB4_608 Depth=2
	s_and_not1_b32 s20, s20, exec_lo
	s_and_b32 s24, s23, exec_lo
	s_mov_b32 s23, -1
	s_or_b32 s20, s20, s24
	s_and_saveexec_b32 s24, s22
	s_cbranch_execz .LBB4_607
; %bb.610:                              ;   in Loop: Header=BB4_608 Depth=2
	s_sleep 1
	s_cbranch_execnz .LBB4_698
; %bb.611:                              ;   in Loop: Header=BB4_608 Depth=2
	ds_load_b64 v[18:19], v0
	s_and_not1_b32 s20, s20, exec_lo
	s_waitcnt lgkmcnt(0)
	v_cmp_ge_u64_e32 vcc_lo, v[18:19], v[2:3]
	s_or_not1_b32 s23, vcc_lo, exec_lo
	s_branch .LBB4_607
.LBB4_612:                              ;   in Loop: Header=BB4_608 Depth=2
	s_cbranch_execnz .LBB4_700
; %bb.613:                              ;   in Loop: Header=BB4_608 Depth=2
	ds_load_b64 v[18:19], v0
	s_and_not1_b32 s22, s22, exec_lo
	s_mov_b32 s21, 0
	s_mov_b32 s23, -1
	s_waitcnt lgkmcnt(0)
	flat_load_b32 v18, v[18:19] glc
	s_waitcnt vmcnt(0) lgkmcnt(0)
	buffer_gl1_inv
	buffer_gl0_inv
	v_cmp_eq_u32_e32 vcc_lo, 0, v18
	s_and_b32 s24, vcc_lo, exec_lo
	s_delay_alu instid0(SALU_CYCLE_1)
	s_or_b32 s22, s22, s24
	s_branch .LBB4_609
.LBB4_614:                              ;   in Loop: Header=BB4_32 Depth=1
	s_or_b32 exec_lo, exec_lo, s18
	s_and_saveexec_b32 s18, s19
	s_delay_alu instid0(SALU_CYCLE_1)
	s_xor_b32 s18, exec_lo, s18
	s_cbranch_execz .LBB4_616
; %bb.615:                              ;   in Loop: Header=BB4_32 Depth=1
	ds_store_b32 v0, v129
	s_cbranch_execnz .LBB4_717
.LBB4_616:                              ;   in Loop: Header=BB4_32 Depth=1
	s_or_b32 exec_lo, exec_lo, s17
	;;#ASMSTART
	s_wakeup
	;;#ASMEND
.LBB4_617:                              ;   in Loop: Header=BB4_32 Depth=1
	s_or_b32 exec_lo, exec_lo, s9
.LBB4_618:                              ;   in Loop: Header=BB4_32 Depth=1
	s_and_not1_saveexec_b32 s8, s8
	s_cbranch_execz .LBB4_620
; %bb.619:                              ;   in Loop: Header=BB4_32 Depth=1
	s_waitcnt vmcnt(0) lgkmcnt(0)
	s_waitcnt_vscnt null, 0x0
	buffer_gl1_inv
	buffer_gl0_inv
	s_barrier
.LBB4_620:                              ;   in Loop: Header=BB4_32 Depth=1
	s_or_b32 exec_lo, exec_lo, s8
.LBB4_621:                              ;   in Loop: Header=BB4_32 Depth=1
	s_delay_alu instid0(SALU_CYCLE_1)
	s_or_b32 exec_lo, exec_lo, s7
	s_and_saveexec_b32 s7, s6
	s_cbranch_execz .LBB4_623
; %bb.622:                              ;   in Loop: Header=BB4_32 Depth=1
	v_add_co_u32 v50, vcc_lo, v50, 1
	v_add_co_ci_u32_e32 v51, vcc_lo, 0, v51, vcc_lo
	s_waitcnt vmcnt(0) lgkmcnt(0)
	s_waitcnt_vscnt null, 0x0
	flat_store_b64 v[38:39], v[50:51]
.LBB4_623:                              ;   in Loop: Header=BB4_32 Depth=1
	s_or_b32 exec_lo, exec_lo, s7
	v_add_co_u32 v68, vcc_lo, v68, v66
	v_add_co_ci_u32_e32 v69, vcc_lo, 0, v69, vcc_lo
	v_add_co_u32 v34, vcc_lo, v34, 1
	v_add_co_ci_u32_e32 v35, vcc_lo, 0, v35, vcc_lo
	s_delay_alu instid0(VALU_DEP_3) | instskip(SKIP_1) | instid1(VALU_DEP_1)
	v_cmp_ge_u64_e32 vcc_lo, v[68:69], v[8:9]
	v_add_co_u32 v10, s7, v10, v66
	v_add_co_ci_u32_e64 v11, s7, 0, v11, s7
	s_or_b32 s15, vcc_lo, s15
	s_delay_alu instid0(SALU_CYCLE_1)
	s_and_not1_b32 exec_lo, exec_lo, s15
	s_cbranch_execnz .LBB4_32
; %bb.624:
	s_or_b32 exec_lo, exec_lo, s15
.LBB4_625:
	s_delay_alu instid0(SALU_CYCLE_1)
	s_or_b32 exec_lo, exec_lo, s13
	s_and_saveexec_b32 s1, s12
	s_cbranch_execz .LBB4_627
; %bb.626:
	s_waitcnt vmcnt(0) lgkmcnt(0)
	flat_store_b64 v[28:29], v[50:51] offset:104
.LBB4_627:
	s_or_b32 exec_lo, exec_lo, s1
	s_and_saveexec_b32 s1, s0
	s_cbranch_execz .LBB4_629
; %bb.628:
	s_waitcnt vmcnt(0) lgkmcnt(0)
	flat_store_b64 v[36:37], v[16:17] offset:104
.LBB4_629:
	s_or_b32 exec_lo, exec_lo, s1
	s_delay_alu instid0(SALU_CYCLE_1)
	s_mov_b32 s0, exec_lo
	v_cmpx_ne_u32_e32 32, v1
	s_cbranch_execz .LBB4_708
; %bb.630:
	s_mov_b32 s1, exec_lo
	v_cmpx_ne_u32_e64 v0, v1
	s_xor_b32 s1, exec_lo, s1
	s_cbranch_execz .LBB4_706
; %bb.631:
	v_and_b32_e32 v0, 31, v31
	s_mov_b32 s2, exec_lo
	s_delay_alu instid0(VALU_DEP_1)
	v_cmpx_eq_u32_e32 0, v0
	s_cbranch_execz .LBB4_705
; %bb.632:
	s_mov_b32 s4, exec_lo
	s_mov_b32 s3, exec_lo
	v_mbcnt_lo_u32_b32 v0, s4, 0
	s_waitcnt vmcnt(0) lgkmcnt(0)
	s_waitcnt_vscnt null, 0x0
	buffer_gl1_inv
	buffer_gl0_inv
	v_cmpx_eq_u32_e32 0, v0
	s_cbranch_execz .LBB4_634
; %bb.633:
	s_bcnt1_i32_b32 s4, s4
	s_delay_alu instid0(SALU_CYCLE_1)
	v_dual_mov_b32 v5, 0 :: v_dual_mov_b32 v4, s4
	ds_add_u64 v0, v[4:5]
	s_cbranch_execnz .LBB4_666
.LBB4_634:
	s_or_b32 exec_lo, exec_lo, s3
	s_cbranch_execnz .LBB4_651
; %bb.635:
	v_ashrrev_i32_e32 v0, 31, v1
	s_mov_b32 s3, exec_lo
	s_delay_alu instid0(VALU_DEP_1) | instskip(NEXT) | instid1(VALU_DEP_1)
	v_lshrrev_b32_e32 v0, 27, v0
	v_add_nc_u32_e32 v0, v1, v0
	ds_load_b64 v[4:5], v0
	v_ashrrev_i32_e32 v0, 5, v0
	s_delay_alu instid0(VALU_DEP_1) | instskip(SKIP_1) | instid1(VALU_DEP_2)
	v_ashrrev_i32_e32 v1, 31, v0
	v_add_co_u32 v0, vcc_lo, v2, v0
	v_add_co_ci_u32_e32 v1, vcc_lo, v3, v1, vcc_lo
	s_waitcnt lgkmcnt(0)
	s_delay_alu instid0(VALU_DEP_1)
	v_cmpx_lt_u64_e64 v[4:5], v[0:1]
	s_cbranch_execz .LBB4_704
; %bb.636:
	s_mov_b32 s4, 0
	s_mov_b32 s7, 0
                                        ; implicit-def: $sgpr5
                                        ; implicit-def: $sgpr6
	s_branch .LBB4_656
.LBB4_637:
	s_trap 2
	s_sendmsg_rtn_b32 s0, sendmsg(MSG_RTN_GET_DOORBELL)
	s_mov_b32 ttmp2, m0
	s_waitcnt lgkmcnt(0)
	s_and_b32 s0, s0, 0x3ff
	s_delay_alu instid0(SALU_CYCLE_1) | instskip(NEXT) | instid1(SALU_CYCLE_1)
	s_bitset1_b32 s0, 10
	s_mov_b32 m0, s0
	s_sendmsg sendmsg(MSG_INTERRUPT)
	s_mov_b32 m0, ttmp2
.LBB4_638:                              ; =>This Inner Loop Header: Depth=1
	s_sethalt 5
	s_branch .LBB4_638
.LBB4_639:
	s_trap 2
	s_sendmsg_rtn_b32 s0, sendmsg(MSG_RTN_GET_DOORBELL)
	s_mov_b32 ttmp2, m0
	s_waitcnt lgkmcnt(0)
	s_and_b32 s0, s0, 0x3ff
	s_delay_alu instid0(SALU_CYCLE_1) | instskip(NEXT) | instid1(SALU_CYCLE_1)
	s_bitset1_b32 s0, 10
	s_mov_b32 m0, s0
	s_sendmsg sendmsg(MSG_INTERRUPT)
	s_mov_b32 m0, ttmp2
.LBB4_640:                              ; =>This Inner Loop Header: Depth=1
	s_sethalt 5
	s_branch .LBB4_640
.LBB4_641:
	s_trap 2
	s_sendmsg_rtn_b32 s0, sendmsg(MSG_RTN_GET_DOORBELL)
	s_mov_b32 ttmp2, m0
	s_waitcnt lgkmcnt(0)
	s_and_b32 s0, s0, 0x3ff
	s_delay_alu instid0(SALU_CYCLE_1) | instskip(NEXT) | instid1(SALU_CYCLE_1)
	s_bitset1_b32 s0, 10
	s_mov_b32 m0, s0
	s_sendmsg sendmsg(MSG_INTERRUPT)
	s_mov_b32 m0, ttmp2
.LBB4_642:                              ; =>This Inner Loop Header: Depth=1
	s_sethalt 5
	s_branch .LBB4_642
.LBB4_643:
	s_trap 2
	s_sendmsg_rtn_b32 s0, sendmsg(MSG_RTN_GET_DOORBELL)
	s_mov_b32 ttmp2, m0
	s_waitcnt lgkmcnt(0)
	s_and_b32 s0, s0, 0x3ff
	s_delay_alu instid0(SALU_CYCLE_1) | instskip(NEXT) | instid1(SALU_CYCLE_1)
	s_bitset1_b32 s0, 10
	s_mov_b32 m0, s0
	s_sendmsg sendmsg(MSG_INTERRUPT)
	s_mov_b32 m0, ttmp2
.LBB4_644:                              ; =>This Inner Loop Header: Depth=1
	s_sethalt 5
	s_branch .LBB4_644
.LBB4_645:
	s_trap 2
	s_sendmsg_rtn_b32 s0, sendmsg(MSG_RTN_GET_DOORBELL)
	s_mov_b32 ttmp2, m0
	s_waitcnt lgkmcnt(0)
	s_and_b32 s0, s0, 0x3ff
	s_delay_alu instid0(SALU_CYCLE_1) | instskip(NEXT) | instid1(SALU_CYCLE_1)
	s_bitset1_b32 s0, 10
	s_mov_b32 m0, s0
	s_sendmsg sendmsg(MSG_INTERRUPT)
	s_mov_b32 m0, ttmp2
.LBB4_646:                              ; =>This Inner Loop Header: Depth=1
	s_sethalt 5
	s_branch .LBB4_646
.LBB4_647:
	s_trap 2
	s_sendmsg_rtn_b32 s0, sendmsg(MSG_RTN_GET_DOORBELL)
	s_mov_b32 ttmp2, m0
	s_waitcnt lgkmcnt(0)
	s_and_b32 s0, s0, 0x3ff
	s_delay_alu instid0(SALU_CYCLE_1) | instskip(NEXT) | instid1(SALU_CYCLE_1)
	s_bitset1_b32 s0, 10
	s_mov_b32 m0, s0
	s_sendmsg sendmsg(MSG_INTERRUPT)
	s_mov_b32 m0, ttmp2
.LBB4_648:                              ; =>This Inner Loop Header: Depth=1
	s_sethalt 5
	s_branch .LBB4_648
.LBB4_649:
	s_trap 2
	s_sendmsg_rtn_b32 s0, sendmsg(MSG_RTN_GET_DOORBELL)
	s_mov_b32 ttmp2, m0
	s_waitcnt lgkmcnt(0)
	s_and_b32 s0, s0, 0x3ff
	s_delay_alu instid0(SALU_CYCLE_1) | instskip(NEXT) | instid1(SALU_CYCLE_1)
	s_bitset1_b32 s0, 10
	s_mov_b32 m0, s0
	s_sendmsg sendmsg(MSG_INTERRUPT)
	s_mov_b32 m0, ttmp2
.LBB4_650:                              ; =>This Inner Loop Header: Depth=1
	s_sethalt 5
	s_branch .LBB4_650
.LBB4_651:
	s_trap 2
	s_sendmsg_rtn_b32 s0, sendmsg(MSG_RTN_GET_DOORBELL)
	s_mov_b32 ttmp2, m0
	s_waitcnt lgkmcnt(0)
	s_and_b32 s0, s0, 0x3ff
	s_delay_alu instid0(SALU_CYCLE_1) | instskip(NEXT) | instid1(SALU_CYCLE_1)
	s_bitset1_b32 s0, 10
	s_mov_b32 m0, s0
	s_sendmsg sendmsg(MSG_INTERRUPT)
	s_mov_b32 m0, ttmp2
.LBB4_652:                              ; =>This Inner Loop Header: Depth=1
	s_sethalt 5
	s_branch .LBB4_652
.LBB4_653:
	s_trap 2
	s_sendmsg_rtn_b32 s0, sendmsg(MSG_RTN_GET_DOORBELL)
	s_mov_b32 ttmp2, m0
	s_waitcnt lgkmcnt(0)
	s_and_b32 s0, s0, 0x3ff
	s_delay_alu instid0(SALU_CYCLE_1) | instskip(NEXT) | instid1(SALU_CYCLE_1)
	s_bitset1_b32 s0, 10
	s_mov_b32 m0, s0
	s_sendmsg sendmsg(MSG_INTERRUPT)
	s_mov_b32 m0, ttmp2
.LBB4_654:                              ; =>This Inner Loop Header: Depth=1
	s_sethalt 5
	s_branch .LBB4_654
.LBB4_655:                              ;   in Loop: Header=BB4_656 Depth=1
	s_or_b32 exec_lo, exec_lo, s10
	s_delay_alu instid0(SALU_CYCLE_1) | instskip(NEXT) | instid1(SALU_CYCLE_1)
	s_and_b32 s8, exec_lo, s9
	s_or_b32 s4, s8, s4
	s_and_not1_b32 s5, s5, exec_lo
	s_and_b32 s8, s6, exec_lo
	s_delay_alu instid0(SALU_CYCLE_1)
	s_or_b32 s5, s5, s8
	s_and_not1_b32 exec_lo, exec_lo, s4
	s_cbranch_execz .LBB4_702
.LBB4_656:                              ; =>This Inner Loop Header: Depth=1
	s_add_i32 s7, s7, 1
                                        ; implicit-def: $sgpr9
	s_delay_alu instid0(SALU_CYCLE_1) | instskip(SKIP_1) | instid1(SALU_CYCLE_1)
	s_cmpk_lg_i32 s7, 0x2710
	s_cselect_b32 s8, -1, 0
	s_and_b32 vcc_lo, exec_lo, s8
	s_cbranch_vccz .LBB4_660
.LBB4_657:                              ;   in Loop: Header=BB4_656 Depth=1
	s_and_not1_b32 s6, s6, exec_lo
	s_and_b32 s10, s9, exec_lo
	s_mov_b32 s9, -1
	s_or_b32 s6, s6, s10
	s_and_saveexec_b32 s10, s8
	s_cbranch_execz .LBB4_655
; %bb.658:                              ;   in Loop: Header=BB4_656 Depth=1
	s_sleep 1
	s_cbranch_execnz .LBB4_680
; %bb.659:                              ;   in Loop: Header=BB4_656 Depth=1
	ds_load_b64 v[2:3], v0
	s_and_not1_b32 s6, s6, exec_lo
	s_waitcnt lgkmcnt(0)
	v_cmp_ge_u64_e32 vcc_lo, v[2:3], v[0:1]
	s_or_not1_b32 s9, vcc_lo, exec_lo
	s_branch .LBB4_655
.LBB4_660:                              ;   in Loop: Header=BB4_656 Depth=1
	s_cbranch_execnz .LBB4_686
; %bb.661:                              ;   in Loop: Header=BB4_656 Depth=1
	ds_load_b64 v[2:3], v0
	s_and_not1_b32 s8, s8, exec_lo
	s_mov_b32 s7, 0
	s_mov_b32 s9, -1
	s_waitcnt lgkmcnt(0)
	flat_load_b32 v2, v[2:3] glc
	s_waitcnt vmcnt(0) lgkmcnt(0)
	buffer_gl1_inv
	buffer_gl0_inv
	v_cmp_eq_u32_e32 vcc_lo, 0, v2
	s_and_b32 s10, vcc_lo, exec_lo
	s_delay_alu instid0(SALU_CYCLE_1)
	s_or_b32 s8, s8, s10
	s_branch .LBB4_657
.LBB4_662:
	s_trap 2
	s_sendmsg_rtn_b32 s0, sendmsg(MSG_RTN_GET_DOORBELL)
	s_mov_b32 ttmp2, m0
	s_waitcnt lgkmcnt(0)
	s_and_b32 s0, s0, 0x3ff
	s_delay_alu instid0(SALU_CYCLE_1) | instskip(NEXT) | instid1(SALU_CYCLE_1)
	s_bitset1_b32 s0, 10
	s_mov_b32 m0, s0
	s_sendmsg sendmsg(MSG_INTERRUPT)
	s_mov_b32 m0, ttmp2
.LBB4_663:                              ; =>This Inner Loop Header: Depth=1
	s_sethalt 5
	s_branch .LBB4_663
.LBB4_664:
	s_trap 2
	s_sendmsg_rtn_b32 s0, sendmsg(MSG_RTN_GET_DOORBELL)
	s_mov_b32 ttmp2, m0
	s_waitcnt lgkmcnt(0)
	s_and_b32 s0, s0, 0x3ff
	s_delay_alu instid0(SALU_CYCLE_1) | instskip(NEXT) | instid1(SALU_CYCLE_1)
	s_bitset1_b32 s0, 10
	s_mov_b32 m0, s0
	s_sendmsg sendmsg(MSG_INTERRUPT)
	s_mov_b32 m0, ttmp2
.LBB4_665:                              ; =>This Inner Loop Header: Depth=1
	s_sethalt 5
	s_branch .LBB4_665
.LBB4_666:
	s_trap 2
	s_sendmsg_rtn_b32 s0, sendmsg(MSG_RTN_GET_DOORBELL)
	s_mov_b32 ttmp2, m0
	s_waitcnt lgkmcnt(0)
	s_and_b32 s0, s0, 0x3ff
	s_delay_alu instid0(SALU_CYCLE_1) | instskip(NEXT) | instid1(SALU_CYCLE_1)
	s_bitset1_b32 s0, 10
	s_mov_b32 m0, s0
	s_sendmsg sendmsg(MSG_INTERRUPT)
	s_mov_b32 m0, ttmp2
.LBB4_667:                              ; =>This Inner Loop Header: Depth=1
	s_sethalt 5
	s_branch .LBB4_667
.LBB4_668:
	s_trap 2
	s_sendmsg_rtn_b32 s0, sendmsg(MSG_RTN_GET_DOORBELL)
	s_mov_b32 ttmp2, m0
	s_waitcnt lgkmcnt(0)
	s_and_b32 s0, s0, 0x3ff
	s_delay_alu instid0(SALU_CYCLE_1) | instskip(NEXT) | instid1(SALU_CYCLE_1)
	s_bitset1_b32 s0, 10
	s_mov_b32 m0, s0
	s_sendmsg sendmsg(MSG_INTERRUPT)
	s_mov_b32 m0, ttmp2
.LBB4_669:                              ; =>This Inner Loop Header: Depth=1
	s_sethalt 5
	s_branch .LBB4_669
.LBB4_670:
	s_trap 2
	s_sendmsg_rtn_b32 s0, sendmsg(MSG_RTN_GET_DOORBELL)
	s_mov_b32 ttmp2, m0
	s_waitcnt lgkmcnt(0)
	s_and_b32 s0, s0, 0x3ff
	s_delay_alu instid0(SALU_CYCLE_1) | instskip(NEXT) | instid1(SALU_CYCLE_1)
	s_bitset1_b32 s0, 10
	s_mov_b32 m0, s0
	s_sendmsg sendmsg(MSG_INTERRUPT)
	s_mov_b32 m0, ttmp2
.LBB4_671:                              ; =>This Inner Loop Header: Depth=1
	s_sethalt 5
	s_branch .LBB4_671
.LBB4_672:
	s_trap 2
	s_sendmsg_rtn_b32 s0, sendmsg(MSG_RTN_GET_DOORBELL)
	s_mov_b32 ttmp2, m0
	s_waitcnt lgkmcnt(0)
	s_and_b32 s0, s0, 0x3ff
	s_delay_alu instid0(SALU_CYCLE_1) | instskip(NEXT) | instid1(SALU_CYCLE_1)
	s_bitset1_b32 s0, 10
	s_mov_b32 m0, s0
	s_sendmsg sendmsg(MSG_INTERRUPT)
	s_mov_b32 m0, ttmp2
.LBB4_673:                              ; =>This Inner Loop Header: Depth=1
	s_sethalt 5
	s_branch .LBB4_673
.LBB4_674:
	s_trap 2
	s_sendmsg_rtn_b32 s0, sendmsg(MSG_RTN_GET_DOORBELL)
	s_mov_b32 ttmp2, m0
	s_waitcnt lgkmcnt(0)
	s_and_b32 s0, s0, 0x3ff
	s_delay_alu instid0(SALU_CYCLE_1) | instskip(NEXT) | instid1(SALU_CYCLE_1)
	s_bitset1_b32 s0, 10
	s_mov_b32 m0, s0
	s_sendmsg sendmsg(MSG_INTERRUPT)
	s_mov_b32 m0, ttmp2
.LBB4_675:                              ; =>This Inner Loop Header: Depth=1
	s_sethalt 5
	s_branch .LBB4_675
.LBB4_676:
	s_trap 2
	s_sendmsg_rtn_b32 s0, sendmsg(MSG_RTN_GET_DOORBELL)
	s_mov_b32 ttmp2, m0
	s_waitcnt lgkmcnt(0)
	s_and_b32 s0, s0, 0x3ff
	s_delay_alu instid0(SALU_CYCLE_1) | instskip(NEXT) | instid1(SALU_CYCLE_1)
	s_bitset1_b32 s0, 10
	s_mov_b32 m0, s0
	s_sendmsg sendmsg(MSG_INTERRUPT)
	s_mov_b32 m0, ttmp2
.LBB4_677:                              ; =>This Inner Loop Header: Depth=1
	s_sethalt 5
	s_branch .LBB4_677
.LBB4_678:
	s_trap 2
	s_sendmsg_rtn_b32 s0, sendmsg(MSG_RTN_GET_DOORBELL)
	s_mov_b32 ttmp2, m0
	s_waitcnt lgkmcnt(0)
	s_and_b32 s0, s0, 0x3ff
	s_delay_alu instid0(SALU_CYCLE_1) | instskip(NEXT) | instid1(SALU_CYCLE_1)
	s_bitset1_b32 s0, 10
	s_mov_b32 m0, s0
	s_sendmsg sendmsg(MSG_INTERRUPT)
	s_mov_b32 m0, ttmp2
.LBB4_679:                              ; =>This Inner Loop Header: Depth=1
	s_sethalt 5
	s_branch .LBB4_679
.LBB4_680:
	s_trap 2
	s_sendmsg_rtn_b32 s0, sendmsg(MSG_RTN_GET_DOORBELL)
	s_mov_b32 ttmp2, m0
	s_waitcnt lgkmcnt(0)
	s_and_b32 s0, s0, 0x3ff
	s_delay_alu instid0(SALU_CYCLE_1) | instskip(NEXT) | instid1(SALU_CYCLE_1)
	s_bitset1_b32 s0, 10
	s_mov_b32 m0, s0
	s_sendmsg sendmsg(MSG_INTERRUPT)
	s_mov_b32 m0, ttmp2
.LBB4_681:                              ; =>This Inner Loop Header: Depth=1
	s_sethalt 5
	s_branch .LBB4_681
.LBB4_682:
	s_trap 2
	s_sendmsg_rtn_b32 s0, sendmsg(MSG_RTN_GET_DOORBELL)
	s_mov_b32 ttmp2, m0
	s_waitcnt lgkmcnt(0)
	s_and_b32 s0, s0, 0x3ff
	s_delay_alu instid0(SALU_CYCLE_1) | instskip(NEXT) | instid1(SALU_CYCLE_1)
	s_bitset1_b32 s0, 10
	s_mov_b32 m0, s0
	s_sendmsg sendmsg(MSG_INTERRUPT)
	s_mov_b32 m0, ttmp2
.LBB4_683:                              ; =>This Inner Loop Header: Depth=1
	s_sethalt 5
	s_branch .LBB4_683
.LBB4_684:
	s_trap 2
	s_sendmsg_rtn_b32 s0, sendmsg(MSG_RTN_GET_DOORBELL)
	s_mov_b32 ttmp2, m0
	s_waitcnt lgkmcnt(0)
	s_and_b32 s0, s0, 0x3ff
	s_delay_alu instid0(SALU_CYCLE_1) | instskip(NEXT) | instid1(SALU_CYCLE_1)
	s_bitset1_b32 s0, 10
	s_mov_b32 m0, s0
	s_sendmsg sendmsg(MSG_INTERRUPT)
	s_mov_b32 m0, ttmp2
.LBB4_685:                              ; =>This Inner Loop Header: Depth=1
	s_sethalt 5
	s_branch .LBB4_685
.LBB4_686:
	s_trap 2
	s_sendmsg_rtn_b32 s0, sendmsg(MSG_RTN_GET_DOORBELL)
	s_mov_b32 ttmp2, m0
	s_waitcnt lgkmcnt(0)
	s_and_b32 s0, s0, 0x3ff
	s_delay_alu instid0(SALU_CYCLE_1) | instskip(NEXT) | instid1(SALU_CYCLE_1)
	s_bitset1_b32 s0, 10
	s_mov_b32 m0, s0
	s_sendmsg sendmsg(MSG_INTERRUPT)
	s_mov_b32 m0, ttmp2
.LBB4_687:                              ; =>This Inner Loop Header: Depth=1
	s_sethalt 5
	s_branch .LBB4_687
.LBB4_688:
	s_trap 2
	s_sendmsg_rtn_b32 s0, sendmsg(MSG_RTN_GET_DOORBELL)
	s_mov_b32 ttmp2, m0
	s_waitcnt lgkmcnt(0)
	s_and_b32 s0, s0, 0x3ff
	s_delay_alu instid0(SALU_CYCLE_1) | instskip(NEXT) | instid1(SALU_CYCLE_1)
	s_bitset1_b32 s0, 10
	s_mov_b32 m0, s0
	s_sendmsg sendmsg(MSG_INTERRUPT)
	s_mov_b32 m0, ttmp2
.LBB4_689:                              ; =>This Inner Loop Header: Depth=1
	s_sethalt 5
	s_branch .LBB4_689
.LBB4_690:
	s_trap 2
	s_sendmsg_rtn_b32 s0, sendmsg(MSG_RTN_GET_DOORBELL)
	s_mov_b32 ttmp2, m0
	s_waitcnt lgkmcnt(0)
	s_and_b32 s0, s0, 0x3ff
	s_delay_alu instid0(SALU_CYCLE_1) | instskip(NEXT) | instid1(SALU_CYCLE_1)
	s_bitset1_b32 s0, 10
	s_mov_b32 m0, s0
	s_sendmsg sendmsg(MSG_INTERRUPT)
	s_mov_b32 m0, ttmp2
.LBB4_691:                              ; =>This Inner Loop Header: Depth=1
	s_sethalt 5
	s_branch .LBB4_691
.LBB4_692:
	s_trap 2
	s_sendmsg_rtn_b32 s0, sendmsg(MSG_RTN_GET_DOORBELL)
	s_mov_b32 ttmp2, m0
	s_waitcnt lgkmcnt(0)
	s_and_b32 s0, s0, 0x3ff
	s_delay_alu instid0(SALU_CYCLE_1) | instskip(NEXT) | instid1(SALU_CYCLE_1)
	s_bitset1_b32 s0, 10
	s_mov_b32 m0, s0
	s_sendmsg sendmsg(MSG_INTERRUPT)
	s_mov_b32 m0, ttmp2
.LBB4_693:                              ; =>This Inner Loop Header: Depth=1
	s_sethalt 5
	s_branch .LBB4_693
.LBB4_694:
	s_trap 2
	s_sendmsg_rtn_b32 s0, sendmsg(MSG_RTN_GET_DOORBELL)
	s_mov_b32 ttmp2, m0
	s_waitcnt lgkmcnt(0)
	s_and_b32 s0, s0, 0x3ff
	s_delay_alu instid0(SALU_CYCLE_1) | instskip(NEXT) | instid1(SALU_CYCLE_1)
	s_bitset1_b32 s0, 10
	s_mov_b32 m0, s0
	s_sendmsg sendmsg(MSG_INTERRUPT)
	s_mov_b32 m0, ttmp2
.LBB4_695:                              ; =>This Inner Loop Header: Depth=1
	s_sethalt 5
	s_branch .LBB4_695
.LBB4_696:
	s_trap 2
	s_sendmsg_rtn_b32 s0, sendmsg(MSG_RTN_GET_DOORBELL)
	s_mov_b32 ttmp2, m0
	s_waitcnt lgkmcnt(0)
	s_and_b32 s0, s0, 0x3ff
	s_delay_alu instid0(SALU_CYCLE_1) | instskip(NEXT) | instid1(SALU_CYCLE_1)
	s_bitset1_b32 s0, 10
	s_mov_b32 m0, s0
	s_sendmsg sendmsg(MSG_INTERRUPT)
	s_mov_b32 m0, ttmp2
.LBB4_697:                              ; =>This Inner Loop Header: Depth=1
	s_sethalt 5
	s_branch .LBB4_697
.LBB4_698:
	s_trap 2
	s_sendmsg_rtn_b32 s0, sendmsg(MSG_RTN_GET_DOORBELL)
	s_mov_b32 ttmp2, m0
	s_waitcnt lgkmcnt(0)
	s_and_b32 s0, s0, 0x3ff
	s_delay_alu instid0(SALU_CYCLE_1) | instskip(NEXT) | instid1(SALU_CYCLE_1)
	s_bitset1_b32 s0, 10
	s_mov_b32 m0, s0
	s_sendmsg sendmsg(MSG_INTERRUPT)
	s_mov_b32 m0, ttmp2
.LBB4_699:                              ; =>This Inner Loop Header: Depth=1
	s_sethalt 5
	s_branch .LBB4_699
.LBB4_700:
	s_trap 2
	s_sendmsg_rtn_b32 s0, sendmsg(MSG_RTN_GET_DOORBELL)
	s_mov_b32 ttmp2, m0
	s_waitcnt lgkmcnt(0)
	s_and_b32 s0, s0, 0x3ff
	s_delay_alu instid0(SALU_CYCLE_1) | instskip(NEXT) | instid1(SALU_CYCLE_1)
	s_bitset1_b32 s0, 10
	s_mov_b32 m0, s0
	s_sendmsg sendmsg(MSG_INTERRUPT)
	s_mov_b32 m0, ttmp2
.LBB4_701:                              ; =>This Inner Loop Header: Depth=1
	s_sethalt 5
	s_branch .LBB4_701
.LBB4_702:
	s_or_b32 exec_lo, exec_lo, s4
	s_and_saveexec_b32 s4, s5
	s_delay_alu instid0(SALU_CYCLE_1)
	s_xor_b32 s4, exec_lo, s4
	s_cbranch_execz .LBB4_704
; %bb.703:
	v_mov_b32_e32 v0, 1
	ds_store_b32 v0, v0
	s_cbranch_execnz .LBB4_711
.LBB4_704:
	s_or_b32 exec_lo, exec_lo, s3
	;;#ASMSTART
	s_wakeup
	;;#ASMEND
.LBB4_705:
	s_or_b32 exec_lo, exec_lo, s2
.LBB4_706:
	s_and_not1_saveexec_b32 s1, s1
	s_cbranch_execz .LBB4_708
; %bb.707:
	s_waitcnt vmcnt(0) lgkmcnt(0)
	s_waitcnt_vscnt null, 0x0
	buffer_gl1_inv
	buffer_gl0_inv
	s_barrier
.LBB4_708:
	s_or_b32 exec_lo, exec_lo, s0
	s_waitcnt vmcnt(0) lgkmcnt(0)
	s_setpc_b64 s[30:31]
.LBB4_709:
	s_trap 2
	s_sendmsg_rtn_b32 s0, sendmsg(MSG_RTN_GET_DOORBELL)
	s_mov_b32 ttmp2, m0
	s_waitcnt lgkmcnt(0)
	s_and_b32 s0, s0, 0x3ff
	s_delay_alu instid0(SALU_CYCLE_1) | instskip(NEXT) | instid1(SALU_CYCLE_1)
	s_bitset1_b32 s0, 10
	s_mov_b32 m0, s0
	s_sendmsg sendmsg(MSG_INTERRUPT)
	s_mov_b32 m0, ttmp2
.LBB4_710:                              ; =>This Inner Loop Header: Depth=1
	s_sethalt 5
	s_branch .LBB4_710
.LBB4_711:
	s_trap 2
	s_sendmsg_rtn_b32 s0, sendmsg(MSG_RTN_GET_DOORBELL)
	s_mov_b32 ttmp2, m0
	s_waitcnt lgkmcnt(0)
	s_and_b32 s0, s0, 0x3ff
	s_delay_alu instid0(SALU_CYCLE_1) | instskip(NEXT) | instid1(SALU_CYCLE_1)
	s_bitset1_b32 s0, 10
	s_mov_b32 m0, s0
	s_sendmsg sendmsg(MSG_INTERRUPT)
	s_mov_b32 m0, ttmp2
.LBB4_712:                              ; =>This Inner Loop Header: Depth=1
	s_sethalt 5
	s_branch .LBB4_712
.LBB4_713:
	s_trap 2
	s_sendmsg_rtn_b32 s0, sendmsg(MSG_RTN_GET_DOORBELL)
	s_mov_b32 ttmp2, m0
	s_waitcnt lgkmcnt(0)
	s_and_b32 s0, s0, 0x3ff
	s_delay_alu instid0(SALU_CYCLE_1) | instskip(NEXT) | instid1(SALU_CYCLE_1)
	s_bitset1_b32 s0, 10
	s_mov_b32 m0, s0
	s_sendmsg sendmsg(MSG_INTERRUPT)
	s_mov_b32 m0, ttmp2
.LBB4_714:                              ; =>This Inner Loop Header: Depth=1
	s_sethalt 5
	s_branch .LBB4_714
.LBB4_715:
	s_trap 2
	s_sendmsg_rtn_b32 s0, sendmsg(MSG_RTN_GET_DOORBELL)
	s_mov_b32 ttmp2, m0
	s_waitcnt lgkmcnt(0)
	s_and_b32 s0, s0, 0x3ff
	s_delay_alu instid0(SALU_CYCLE_1) | instskip(NEXT) | instid1(SALU_CYCLE_1)
	s_bitset1_b32 s0, 10
	s_mov_b32 m0, s0
	s_sendmsg sendmsg(MSG_INTERRUPT)
	s_mov_b32 m0, ttmp2
.LBB4_716:                              ; =>This Inner Loop Header: Depth=1
	s_sethalt 5
	s_branch .LBB4_716
.LBB4_717:
	s_trap 2
	s_sendmsg_rtn_b32 s0, sendmsg(MSG_RTN_GET_DOORBELL)
	s_mov_b32 ttmp2, m0
	s_waitcnt lgkmcnt(0)
	s_and_b32 s0, s0, 0x3ff
	s_delay_alu instid0(SALU_CYCLE_1) | instskip(NEXT) | instid1(SALU_CYCLE_1)
	s_bitset1_b32 s0, 10
	s_mov_b32 m0, s0
	s_sendmsg sendmsg(MSG_INTERRUPT)
	s_mov_b32 m0, ttmp2
.LBB4_718:                              ; =>This Inner Loop Header: Depth=1
	s_sethalt 5
	s_branch .LBB4_718
.Lfunc_end4:
	.size	_ZN12_GLOBAL__N_17runRingI11rccl_float87FuncSumIS1_E7ProtoLLLi0ELi4ELi0EEEviiP15ncclDevWorkColl, .Lfunc_end4-_ZN12_GLOBAL__N_17runRingI11rccl_float87FuncSumIS1_E7ProtoLLLi0ELi4ELi0EEEviiP15ncclDevWorkColl
                                        ; -- End function
	.section	.AMDGPU.csdata,"",@progbits
; Function info:
; codeLenInByte = 25648
; NumSgprs: 34
; NumVgprs: 166
; ScratchSize: 0
; MemoryBound: 0
	.text
	.p2align	2                               ; -- Begin function _Z50ncclDevFunc_ReduceScatter_RING_LL_Sum_f8e4m3_0_0_4v
	.type	_Z50ncclDevFunc_ReduceScatter_RING_LL_Sum_f8e4m3_0_0_4v,@function
_Z50ncclDevFunc_ReduceScatter_RING_LL_Sum_f8e4m3_0_0_4v: ; @_Z50ncclDevFunc_ReduceScatter_RING_LL_Sum_f8e4m3_0_0_4v
; %bb.0:
	s_waitcnt vmcnt(0) expcnt(0) lgkmcnt(0)
	s_mov_b32 s0, s33
	s_mov_b32 s33, s32
	s_or_saveexec_b32 s1, -1
	scratch_store_b32 off, v40, s33         ; 4-byte Folded Spill
	s_mov_b32 exec_lo, s1
	v_writelane_b32 v40, s0, 5
	s_add_i32 s32, s32, 16
	v_writelane_b32 v40, s34, 0
	v_writelane_b32 v40, s35, 1
	;; [unrolled: 1-line block ×5, first 2 shown]
	s_cbranch_execnz .LBB5_13
; %bb.1:
	ds_load_b32 v0, v0
	s_waitcnt lgkmcnt(0)
	v_cmp_gt_i32_e32 vcc_lo, 1, v0
	s_cbranch_vccnz .LBB5_12
; %bb.2:
	v_and_b32_e32 v166, 0x3ff, v31
	s_mov_b32 s36, 0
	s_mov_b64 s[34:35], src_shared_base
.LBB5_3:                                ; =>This Inner Loop Header: Depth=1
	s_cbranch_execnz .LBB5_15
; %bb.4:                                ;   in Loop: Header=BB5_3 Depth=1
	ds_load_b32 v0, v0
	s_cmp_eq_u32 s36, 0
	s_cbranch_scc1 .LBB5_8
; %bb.5:                                ;   in Loop: Header=BB5_3 Depth=1
	s_cbranch_execnz .LBB5_19
; %bb.6:                                ;   in Loop: Header=BB5_3 Depth=1
	s_waitcnt lgkmcnt(0)
	ds_load_b32 v1, v0
	s_waitcnt lgkmcnt(0)
	v_xor_b32_e32 v1, v1, v0
	s_delay_alu instid0(VALU_DEP_1) | instskip(NEXT) | instid1(VALU_DEP_1)
	v_and_b32_e32 v1, 0xff0000, v1
	v_cmp_eq_u32_e32 vcc_lo, 0, v1
	s_cbranch_vccnz .LBB5_8
; %bb.7:                                ;   in Loop: Header=BB5_3 Depth=1
	s_waitcnt_vscnt null, 0x0
	s_barrier
	buffer_gl0_inv
	ds_load_b32 v0, v0
.LBB5_8:                                ;   in Loop: Header=BB5_3 Depth=1
	s_waitcnt lgkmcnt(0)
	v_lshrrev_b32_e32 v0, 11, v0
	s_mov_b32 s34, exec_lo
	s_delay_alu instid0(VALU_DEP_1) | instskip(NEXT) | instid1(VALU_DEP_1)
	v_and_b32_e32 v1, 0x1fe0, v0
	v_cmpx_lt_u32_e64 v166, v1
	s_cbranch_execz .LBB5_10
; %bb.9:                                ;   in Loop: Header=BB5_3 Depth=1
	v_dual_mov_b32 v0, v166 :: v_dual_mov_b32 v3, s35
	s_getpc_b64 s[0:1]
	s_add_u32 s0, s0, _ZN12_GLOBAL__N_17runRingI11rccl_float87FuncSumIS1_E7ProtoLLLi0ELi4ELi0EEEviiP15ncclDevWorkColl@rel32@lo+4
	s_addc_u32 s1, s1, _ZN12_GLOBAL__N_17runRingI11rccl_float87FuncSumIS1_E7ProtoLLLi0ELi4ELi0EEEviiP15ncclDevWorkColl@rel32@hi+12
	s_mov_b64 s[28:29], s[8:9]
	s_mov_b32 s27, s12
	s_swappc_b64 s[30:31], s[0:1]
	s_mov_b32 s12, s27
	s_mov_b64 s[8:9], s[28:29]
.LBB5_10:                               ;   in Loop: Header=BB5_3 Depth=1
	s_or_b32 exec_lo, exec_lo, s34
	s_cbranch_execnz .LBB5_17
; %bb.11:                               ;   in Loop: Header=BB5_3 Depth=1
	ds_load_b32 v0, v0
	s_add_i32 s36, s36, 1
	s_waitcnt lgkmcnt(0)
	v_cmp_lt_i32_e32 vcc_lo, s36, v0
	s_cbranch_vccnz .LBB5_3
.LBB5_12:
	v_readlane_b32 s30, v40, 3
	v_readlane_b32 s31, v40, 4
	;; [unrolled: 1-line block ×6, first 2 shown]
	s_or_saveexec_b32 s1, -1
	scratch_load_b32 v40, off, s33          ; 4-byte Folded Reload
	s_mov_b32 exec_lo, s1
	s_add_i32 s32, s32, -16
	s_mov_b32 s33, s0
	s_waitcnt vmcnt(0)
	s_setpc_b64 s[30:31]
.LBB5_13:
	s_trap 2
	s_sendmsg_rtn_b32 s0, sendmsg(MSG_RTN_GET_DOORBELL)
	s_mov_b32 ttmp2, m0
	s_waitcnt lgkmcnt(0)
	s_and_b32 s0, s0, 0x3ff
	s_delay_alu instid0(SALU_CYCLE_1) | instskip(NEXT) | instid1(SALU_CYCLE_1)
	s_bitset1_b32 s0, 10
	s_mov_b32 m0, s0
	s_sendmsg sendmsg(MSG_INTERRUPT)
	s_mov_b32 m0, ttmp2
.LBB5_14:                               ; =>This Inner Loop Header: Depth=1
	s_sethalt 5
	s_branch .LBB5_14
.LBB5_15:
	s_trap 2
	s_sendmsg_rtn_b32 s0, sendmsg(MSG_RTN_GET_DOORBELL)
	s_mov_b32 ttmp2, m0
	s_waitcnt lgkmcnt(0)
	s_and_b32 s0, s0, 0x3ff
	s_delay_alu instid0(SALU_CYCLE_1) | instskip(NEXT) | instid1(SALU_CYCLE_1)
	s_bitset1_b32 s0, 10
	s_mov_b32 m0, s0
	s_sendmsg sendmsg(MSG_INTERRUPT)
	s_mov_b32 m0, ttmp2
.LBB5_16:                               ; =>This Inner Loop Header: Depth=1
	s_sethalt 5
	s_branch .LBB5_16
.LBB5_17:
	s_trap 2
	s_sendmsg_rtn_b32 s0, sendmsg(MSG_RTN_GET_DOORBELL)
	s_mov_b32 ttmp2, m0
	s_waitcnt lgkmcnt(0)
	s_and_b32 s0, s0, 0x3ff
	s_delay_alu instid0(SALU_CYCLE_1) | instskip(NEXT) | instid1(SALU_CYCLE_1)
	s_bitset1_b32 s0, 10
	s_mov_b32 m0, s0
	s_sendmsg sendmsg(MSG_INTERRUPT)
	s_mov_b32 m0, ttmp2
.LBB5_18:                               ; =>This Inner Loop Header: Depth=1
	s_sethalt 5
	s_branch .LBB5_18
.LBB5_19:
	s_trap 2
	s_sendmsg_rtn_b32 s0, sendmsg(MSG_RTN_GET_DOORBELL)
	s_mov_b32 ttmp2, m0
	s_waitcnt lgkmcnt(0)
	s_and_b32 s0, s0, 0x3ff
	s_delay_alu instid0(SALU_CYCLE_1) | instskip(NEXT) | instid1(SALU_CYCLE_1)
	s_bitset1_b32 s0, 10
	s_mov_b32 m0, s0
	s_sendmsg sendmsg(MSG_INTERRUPT)
	s_mov_b32 m0, ttmp2
.LBB5_20:                               ; =>This Inner Loop Header: Depth=1
	s_sethalt 5
	s_branch .LBB5_20
.Lfunc_end5:
	.size	_Z50ncclDevFunc_ReduceScatter_RING_LL_Sum_f8e4m3_0_0_4v, .Lfunc_end5-_Z50ncclDevFunc_ReduceScatter_RING_LL_Sum_f8e4m3_0_0_4v
                                        ; -- End function
	.section	.AMDGPU.csdata,"",@progbits
; Function info:
; codeLenInByte = 612
; NumSgprs: 39
; NumVgprs: 167
; ScratchSize: 16
; MemoryBound: 0
	.text
	.p2alignl 7, 3214868480
	.fill 96, 4, 3214868480
	.type	__hip_cuid_cec9eedc3b0e8731,@object ; @__hip_cuid_cec9eedc3b0e8731
	.section	.bss,"aw",@nobits
	.globl	__hip_cuid_cec9eedc3b0e8731
__hip_cuid_cec9eedc3b0e8731:
	.byte	0                               ; 0x0
	.size	__hip_cuid_cec9eedc3b0e8731, 1

	.ident	"AMD clang version 19.0.0git (https://github.com/RadeonOpenCompute/llvm-project roc-6.4.0 25133 c7fe45cf4b819c5991fe208aaa96edf142730f1d)"
	.section	".note.GNU-stack","",@progbits
	.addrsig
	.addrsig_sym _Z50ncclDevFunc_ReduceScatter_RING_LL_Sum_f8e4m3_0_0_1v
	.addrsig_sym _Z50ncclDevFunc_ReduceScatter_RING_LL_Sum_f8e4m3_0_0_2v
	.addrsig_sym _Z50ncclDevFunc_ReduceScatter_RING_LL_Sum_f8e4m3_0_0_4v
	.addrsig_sym ncclShmem
	.addrsig_sym __hip_cuid_cec9eedc3b0e8731
	.amdgpu_metadata
---
amdhsa.kernels:  []
amdhsa.target:   amdgcn-amd-amdhsa--gfx1100
amdhsa.version:
  - 1
  - 2
...

	.end_amdgpu_metadata
